;; amdgpu-corpus repo=ROCm/rocFFT kind=compiled arch=gfx906 opt=O3
	.text
	.amdgcn_target "amdgcn-amd-amdhsa--gfx906"
	.amdhsa_code_object_version 6
	.protected	bluestein_single_back_len255_dim1_sp_op_CI_CI ; -- Begin function bluestein_single_back_len255_dim1_sp_op_CI_CI
	.globl	bluestein_single_back_len255_dim1_sp_op_CI_CI
	.p2align	8
	.type	bluestein_single_back_len255_dim1_sp_op_CI_CI,@function
bluestein_single_back_len255_dim1_sp_op_CI_CI: ; @bluestein_single_back_len255_dim1_sp_op_CI_CI
; %bb.0:
	v_mul_u32_u24_e32 v1, 0xf10, v0
	s_load_dwordx4 s[0:3], s[4:5], 0x28
	v_lshrrev_b32_e32 v1, 16, v1
	v_mad_u64_u32 v[68:69], s[6:7], s6, 3, v[1:2]
	v_mov_b32_e32 v69, 0
	s_waitcnt lgkmcnt(0)
	v_cmp_gt_u64_e32 vcc, s[0:1], v[68:69]
	s_and_saveexec_b64 s[0:1], vcc
	s_cbranch_execz .LBB0_15
; %bb.1:
	s_mov_b32 s0, 0xaaaaaaab
	v_mul_hi_u32 v2, v68, s0
	v_mul_lo_u16_e32 v1, 17, v1
	s_load_dwordx2 s[12:13], s[4:5], 0x0
	s_load_dwordx2 s[14:15], s[4:5], 0x38
	v_sub_u16_e32 v83, v0, v1
	v_lshrrev_b32_e32 v0, 1, v2
	v_lshl_add_u32 v0, v0, 1, v0
	v_sub_u32_e32 v0, v68, v0
	v_mul_u32_u24_e32 v85, 0xff, v0
	v_cmp_gt_u16_e32 vcc, 15, v83
	v_lshlrev_b32_e32 v84, 3, v83
	v_lshlrev_b32_e32 v86, 3, v85
	s_and_saveexec_b64 s[6:7], vcc
	s_cbranch_execz .LBB0_3
; %bb.2:
	s_load_dwordx2 s[0:1], s[4:5], 0x18
	v_or_b32_e32 v62, 0xf0, v83
	s_waitcnt lgkmcnt(0)
	s_load_dwordx4 s[8:11], s[0:1], 0x0
	s_waitcnt lgkmcnt(0)
	v_mad_u64_u32 v[0:1], s[0:1], s10, v68, 0
	v_mad_u64_u32 v[2:3], s[0:1], s8, v83, 0
	;; [unrolled: 1-line block ×4, first 2 shown]
	v_mov_b32_e32 v1, v4
	v_lshlrev_b64 v[0:1], 3, v[0:1]
	v_mov_b32_e32 v3, v5
	v_mov_b32_e32 v6, s3
	v_lshlrev_b64 v[2:3], 3, v[2:3]
	v_add_co_u32_e64 v67, s[0:1], s2, v0
	v_addc_co_u32_e64 v71, s[0:1], v6, v1, s[0:1]
	v_add_co_u32_e64 v0, s[0:1], v67, v2
	v_addc_co_u32_e64 v1, s[0:1], v71, v3, s[0:1]
	s_mul_i32 s0, s9, 0x78
	s_mul_hi_u32 s3, s8, 0x78
	s_add_i32 s3, s3, s0
	s_mul_i32 s2, s8, 0x78
	v_mov_b32_e32 v3, s3
	v_add_co_u32_e64 v2, s[0:1], s2, v0
	v_addc_co_u32_e64 v3, s[0:1], v1, v3, s[0:1]
	v_mov_b32_e32 v5, s3
	v_add_co_u32_e64 v4, s[0:1], s2, v2
	v_addc_co_u32_e64 v5, s[0:1], v3, v5, s[0:1]
	;; [unrolled: 3-line block ×3, first 2 shown]
	global_load_dwordx2 v[8:9], v[0:1], off
	global_load_dwordx2 v[10:11], v[2:3], off
	;; [unrolled: 1-line block ×4, first 2 shown]
	global_load_dwordx2 v[16:17], v84, s[12:13]
	global_load_dwordx2 v[18:19], v84, s[12:13] offset:120
	global_load_dwordx2 v[20:21], v84, s[12:13] offset:240
	;; [unrolled: 1-line block ×3, first 2 shown]
	v_mov_b32_e32 v1, s3
	v_add_co_u32_e64 v0, s[0:1], s2, v6
	v_addc_co_u32_e64 v1, s[0:1], v7, v1, s[0:1]
	global_load_dwordx2 v[2:3], v[0:1], off
	v_mov_b32_e32 v4, s3
	v_add_co_u32_e64 v0, s[0:1], s2, v0
	v_addc_co_u32_e64 v1, s[0:1], v1, v4, s[0:1]
	global_load_dwordx2 v[4:5], v[0:1], off
	;; [unrolled: 4-line block ×4, first 2 shown]
	global_load_dwordx2 v[26:27], v84, s[12:13] offset:480
	global_load_dwordx2 v[28:29], v84, s[12:13] offset:600
	;; [unrolled: 1-line block ×4, first 2 shown]
	v_mov_b32_e32 v34, s3
	v_add_co_u32_e64 v0, s[0:1], s2, v0
	v_addc_co_u32_e64 v1, s[0:1], v1, v34, s[0:1]
	global_load_dwordx2 v[34:35], v[0:1], off
	v_mov_b32_e32 v36, s3
	v_add_co_u32_e64 v0, s[0:1], s2, v0
	v_addc_co_u32_e64 v1, s[0:1], v1, v36, s[0:1]
	global_load_dwordx2 v[36:37], v[0:1], off
	;; [unrolled: 4-line block ×4, first 2 shown]
	global_load_dwordx2 v[42:43], v84, s[12:13] offset:960
	global_load_dwordx2 v[44:45], v84, s[12:13] offset:1080
	global_load_dwordx2 v[46:47], v84, s[12:13] offset:1200
	global_load_dwordx2 v[48:49], v84, s[12:13] offset:1320
	v_mov_b32_e32 v50, s3
	v_add_co_u32_e64 v0, s[0:1], s2, v0
	v_addc_co_u32_e64 v1, s[0:1], v1, v50, s[0:1]
	global_load_dwordx2 v[50:51], v[0:1], off
	global_load_dwordx2 v[52:53], v84, s[12:13] offset:1440
	v_mov_b32_e32 v54, s3
	v_add_co_u32_e64 v0, s[0:1], s2, v0
	v_addc_co_u32_e64 v1, s[0:1], v1, v54, s[0:1]
	global_load_dwordx2 v[54:55], v[0:1], off
	v_mov_b32_e32 v56, s3
	v_add_co_u32_e64 v0, s[0:1], s2, v0
	v_addc_co_u32_e64 v1, s[0:1], v1, v56, s[0:1]
	v_mad_u64_u32 v[58:59], s[0:1], s8, v62, 0
	global_load_dwordx2 v[56:57], v[0:1], off
	v_mov_b32_e32 v60, s3
	v_add_co_u32_e64 v0, s[0:1], s2, v0
	v_addc_co_u32_e64 v1, s[0:1], v1, v60, s[0:1]
	global_load_dwordx2 v[60:61], v84, s[12:13] offset:1560
	s_waitcnt vmcnt(0)
	v_mad_u64_u32 v[62:63], s[0:1], s9, v62, v[59:60]
	global_load_dwordx2 v[63:64], v[0:1], off
	global_load_dwordx2 v[65:66], v84, s[12:13] offset:1680
	global_load_dwordx2 v[69:70], v84, s[12:13] offset:1800
	v_mov_b32_e32 v59, v62
	v_lshlrev_b64 v[0:1], 3, v[58:59]
	v_lshl_add_u32 v62, v83, 3, v86
	v_add_co_u32_e64 v0, s[0:1], v67, v0
	v_addc_co_u32_e64 v1, s[0:1], v71, v1, s[0:1]
	global_load_dwordx2 v[58:59], v[0:1], off
	global_load_dwordx2 v[71:72], v84, s[12:13] offset:1920
	v_mul_f32_e32 v0, v9, v17
	v_mul_f32_e32 v1, v8, v17
	v_fmac_f32_e32 v0, v8, v16
	v_fma_f32 v1, v9, v16, -v1
	ds_write_b64 v62, v[0:1]
	v_mul_f32_e32 v0, v11, v19
	v_mul_f32_e32 v1, v10, v19
	;; [unrolled: 1-line block ×4, first 2 shown]
	v_fmac_f32_e32 v0, v10, v18
	v_add_u32_e32 v16, v86, v84
	v_fma_f32 v1, v11, v18, -v1
	v_fmac_f32_e32 v8, v12, v20
	v_fma_f32 v9, v13, v20, -v9
	ds_write2_b64 v16, v[0:1], v[8:9] offset0:15 offset1:30
	v_mul_f32_e32 v8, v3, v27
	v_mul_f32_e32 v0, v15, v23
	;; [unrolled: 1-line block ×3, first 2 shown]
	v_fmac_f32_e32 v8, v2, v26
	v_mul_f32_e32 v2, v2, v27
	v_fmac_f32_e32 v0, v14, v22
	v_fma_f32 v1, v15, v22, -v1
	v_fma_f32 v9, v3, v26, -v2
	ds_write2_b64 v16, v[0:1], v[8:9] offset0:45 offset1:60
	v_mul_f32_e32 v0, v5, v29
	v_mul_f32_e32 v1, v4, v29
	v_mul_f32_e32 v2, v7, v31
	v_mul_f32_e32 v3, v6, v31
	v_fmac_f32_e32 v0, v4, v28
	v_fma_f32 v1, v5, v28, -v1
	v_fmac_f32_e32 v2, v6, v30
	v_fma_f32 v3, v7, v30, -v3
	ds_write2_b64 v16, v[0:1], v[2:3] offset0:75 offset1:90
	v_mul_f32_e32 v0, v25, v33
	v_mul_f32_e32 v1, v24, v33
	v_mul_f32_e32 v2, v35, v43
	v_mul_f32_e32 v3, v34, v43
	v_fmac_f32_e32 v0, v24, v32
	v_fma_f32 v1, v25, v32, -v1
	v_fmac_f32_e32 v2, v34, v42
	;; [unrolled: 9-line block ×4, first 2 shown]
	v_fma_f32 v3, v51, v52, -v3
	ds_write2_b64 v16, v[0:1], v[2:3] offset0:165 offset1:180
	v_mul_f32_e32 v0, v55, v61
	v_mul_f32_e32 v1, v54, v61
	v_fmac_f32_e32 v0, v54, v60
	v_fma_f32 v1, v55, v60, -v1
	s_waitcnt vmcnt(3)
	v_mul_f32_e32 v2, v57, v66
	v_mul_f32_e32 v3, v56, v66
	v_fmac_f32_e32 v2, v56, v65
	v_fma_f32 v3, v57, v65, -v3
	ds_write2_b64 v16, v[0:1], v[2:3] offset0:195 offset1:210
	s_waitcnt vmcnt(2)
	v_mul_f32_e32 v0, v64, v70
	v_mul_f32_e32 v1, v63, v70
	v_fmac_f32_e32 v0, v63, v69
	v_fma_f32 v1, v64, v69, -v1
	s_waitcnt vmcnt(0)
	v_mul_f32_e32 v2, v59, v72
	v_mul_f32_e32 v3, v58, v72
	v_fmac_f32_e32 v2, v58, v71
	v_fma_f32 v3, v59, v71, -v3
	ds_write2_b64 v16, v[0:1], v[2:3] offset0:225 offset1:240
.LBB0_3:
	s_or_b64 exec, exec, s[6:7]
	s_load_dwordx2 s[0:1], s[4:5], 0x20
	s_load_dwordx2 s[2:3], s[4:5], 0x8
	v_mov_b32_e32 v0, 0
	v_mov_b32_e32 v1, 0
	s_waitcnt lgkmcnt(0)
	; wave barrier
	s_waitcnt lgkmcnt(0)
                                        ; implicit-def: $vgpr18
                                        ; implicit-def: $vgpr12
                                        ; implicit-def: $vgpr8
                                        ; implicit-def: $vgpr4
                                        ; implicit-def: $vgpr32
                                        ; implicit-def: $vgpr22
                                        ; implicit-def: $vgpr26
                                        ; implicit-def: $vgpr30
	s_and_saveexec_b64 s[4:5], vcc
	s_cbranch_execz .LBB0_5
; %bb.4:
	v_lshl_add_u32 v32, v85, 3, v84
	ds_read2_b64 v[0:3], v32 offset1:15
	ds_read2_b64 v[28:31], v32 offset0:30 offset1:45
	ds_read2_b64 v[24:27], v32 offset0:60 offset1:75
	;; [unrolled: 1-line block ×7, first 2 shown]
	ds_read_b64 v[32:33], v32 offset:1920
.LBB0_5:
	s_or_b64 exec, exec, s[4:5]
	s_waitcnt lgkmcnt(0)
	v_sub_f32_e32 v62, v3, v33
	v_mul_f32_e32 v50, 0xbeb8f4ab, v62
	v_add_f32_e32 v34, v32, v2
	v_sub_f32_e32 v67, v2, v32
	v_mov_b32_e32 v35, v50
	v_add_f32_e32 v36, v33, v3
	s_mov_b32 s6, 0x3f6eb680
	v_mul_f32_e32 v52, 0xbeb8f4ab, v67
	v_fmac_f32_e32 v35, 0x3f6eb680, v34
	v_sub_f32_e32 v65, v29, v7
	v_add_f32_e32 v37, v35, v0
	v_fma_f32 v35, v36, s6, -v52
	v_mul_f32_e32 v51, 0xbf2c7751, v65
	v_add_f32_e32 v39, v35, v1
	v_add_f32_e32 v35, v6, v28
	v_sub_f32_e32 v74, v28, v6
	v_mov_b32_e32 v40, v51
	s_mov_b32 s7, 0x3f3d2fb0
	v_add_f32_e32 v38, v7, v29
	v_mul_f32_e32 v54, 0xbf2c7751, v74
	v_fmac_f32_e32 v40, 0x3f3d2fb0, v35
	v_sub_f32_e32 v73, v31, v5
	v_add_f32_e32 v41, v40, v37
	v_fma_f32 v37, v38, s7, -v54
	v_mul_f32_e32 v53, 0xbf65296c, v73
	v_add_f32_e32 v39, v37, v39
	v_add_f32_e32 v37, v4, v30
	v_sub_f32_e32 v77, v30, v4
	v_mov_b32_e32 v42, v53
	v_add_f32_e32 v40, v5, v31
	s_mov_b32 s9, 0x3ee437d1
	v_mul_f32_e32 v56, 0xbf65296c, v77
	v_fmac_f32_e32 v42, 0x3ee437d1, v37
	v_sub_f32_e32 v76, v25, v11
	v_add_f32_e32 v41, v42, v41
	v_fma_f32 v42, v40, s9, -v56
	v_mul_f32_e32 v55, 0xbf7ee86f, v76
	v_add_f32_e32 v43, v42, v39
	v_add_f32_e32 v39, v10, v24
	v_sub_f32_e32 v79, v24, v10
	v_mov_b32_e32 v44, v55
	s_mov_b32 s8, 0x3dbcf732
	v_add_f32_e32 v42, v11, v25
	v_mul_f32_e32 v58, 0xbf7ee86f, v79
	v_fmac_f32_e32 v44, 0x3dbcf732, v39
	v_sub_f32_e32 v78, v27, v9
	v_add_f32_e32 v45, v44, v41
	v_fma_f32 v41, v42, s8, -v58
	v_mul_f32_e32 v57, 0xbf763a35, v78
	v_add_f32_e32 v43, v41, v43
	;; [unrolled: 24-line block ×3, first 2 shown]
	v_add_f32_e32 v45, v12, v22
	v_sub_f32_e32 v97, v22, v12
	v_mov_b32_e32 v64, v61
	s_mov_b32 s17, 0xbf59a7d5
	v_add_f32_e32 v48, v13, v23
	v_mul_f32_e32 v66, 0xbf06c442, v97
	v_fmac_f32_e32 v64, 0xbf59a7d5, v45
	v_add_f32_e32 v49, v64, v49
	v_fma_f32 v64, v48, s17, -v66
	v_sub_f32_e32 v93, v17, v19
	v_add_f32_e32 v70, v64, v47
	v_mul_f32_e32 v64, 0xbe3c28d5, v93
	v_add_f32_e32 v47, v18, v16
	v_mov_b32_e32 v69, v64
	v_fmac_f32_e32 v69, 0xbf7ba420, v47
	v_sub_f32_e32 v99, v16, v18
	s_mov_b32 s11, 0xbf7ba420
	v_add_f32_e32 v69, v69, v49
	v_add_f32_e32 v49, v19, v17
	v_mul_f32_e32 v75, 0xbe3c28d5, v99
	v_fma_f32 v71, v49, s11, -v75
	v_mul_f32_e32 v82, 0xbf2c7751, v62
	v_add_f32_e32 v70, v71, v70
	v_mov_b32_e32 v71, v82
	v_mul_f32_e32 v87, 0xbf7ee86f, v65
	v_fmac_f32_e32 v71, 0x3f3d2fb0, v34
	v_mov_b32_e32 v72, v87
	v_add_f32_e32 v71, v71, v0
	v_fmac_f32_e32 v72, 0x3dbcf732, v35
	v_mul_f32_e32 v103, 0xbf2c7751, v67
	v_add_f32_e32 v71, v72, v71
	v_fma_f32 v72, v36, s7, -v103
	v_mul_f32_e32 v104, 0xbf7ee86f, v74
	v_add_f32_e32 v72, v72, v1
	v_fma_f32 v89, v38, s8, -v104
	v_add_f32_e32 v72, v89, v72
	v_mul_f32_e32 v89, 0xbf4c4adb, v73
	v_mov_b32_e32 v90, v89
	v_fmac_f32_e32 v90, 0xbf1a4643, v37
	v_mul_f32_e32 v107, 0xbf4c4adb, v77
	v_add_f32_e32 v71, v90, v71
	v_fma_f32 v90, v40, s10, -v107
	v_add_f32_e32 v72, v90, v72
	v_mul_f32_e32 v90, 0xbe3c28d5, v76
	v_mov_b32_e32 v92, v90
	v_fmac_f32_e32 v92, 0xbf7ba420, v39
	;; [unrolled: 7-line block ×3, first 2 shown]
	v_mul_f32_e32 v112, 0x3f06c442, v81
	v_add_f32_e32 v71, v94, v71
	v_fma_f32 v94, v44, s17, -v112
	v_mul_f32_e32 v95, 0x3f763a35, v80
	v_add_f32_e32 v72, v94, v72
	v_mov_b32_e32 v94, v95
	v_fmac_f32_e32 v94, 0xbe8c1d8e, v43
	v_mul_f32_e32 v113, 0x3f763a35, v91
	v_add_f32_e32 v71, v94, v71
	v_fma_f32 v94, v46, s16, -v113
	v_mul_f32_e32 v96, 0x3f65296c, v88
	v_add_f32_e32 v72, v94, v72
	v_mov_b32_e32 v94, v96
	v_fmac_f32_e32 v94, 0x3ee437d1, v45
	;; [unrolled: 7-line block ×3, first 2 shown]
	v_mul_f32_e32 v115, 0x3eb8f4ab, v99
	v_add_f32_e32 v71, v94, v71
	v_fma_f32 v94, v49, s6, -v115
	v_add_f32_e32 v72, v94, v72
	s_waitcnt lgkmcnt(0)
	; wave barrier
	s_and_saveexec_b64 s[4:5], vcc
	s_cbranch_execz .LBB0_7
; %bb.6:
	v_mul_f32_e32 v98, 0xbe3c28d5, v67
	v_mov_b32_e32 v94, v98
	v_mul_f32_e32 v101, 0x3eb8f4ab, v74
	v_fmac_f32_e32 v94, 0xbf7ba420, v36
	v_mov_b32_e32 v102, v101
	v_add_f32_e32 v94, v94, v1
	v_fmac_f32_e32 v102, 0x3f6eb680, v38
	v_add_f32_e32 v94, v102, v94
	v_mul_f32_e32 v102, 0xbf06c442, v77
	v_mov_b32_e32 v105, v102
	v_fmac_f32_e32 v105, 0xbf59a7d5, v40
	v_add_f32_e32 v94, v105, v94
	v_mul_f32_e32 v105, 0x3f2c7751, v79
	v_mov_b32_e32 v106, v105
	;; [unrolled: 4-line block ×5, first 2 shown]
	v_fmac_f32_e32 v111, 0xbe8c1d8e, v48
	v_add_f32_e32 v116, v111, v94
	v_mul_f32_e32 v111, 0xbe3c28d5, v62
	v_add_f32_e32 v3, v3, v1
	v_add_f32_e32 v2, v2, v0
	v_fma_f32 v117, v34, s11, -v111
	v_add_f32_e32 v3, v29, v3
	v_add_f32_e32 v2, v28, v2
	v_mul_f32_e32 v28, 0x3eb8f4ab, v65
	v_add_f32_e32 v117, v117, v0
	v_add_f32_e32 v31, v31, v3
	v_fma_f32 v3, v35, s6, -v28
	v_mul_f32_e32 v29, 0xbf06c442, v73
	v_add_f32_e32 v2, v30, v2
	v_add_f32_e32 v3, v3, v117
	v_fma_f32 v30, v37, s17, -v29
	v_add_f32_e32 v3, v30, v3
	v_mul_f32_e32 v30, 0x3f2c7751, v76
	v_mul_f32_e32 v94, 0x3f7ee86f, v99
	v_fma_f32 v117, v39, s7, -v30
	v_add_f32_e32 v117, v117, v3
	v_mov_b32_e32 v3, v94
	v_add_f32_e32 v2, v24, v2
	v_fmac_f32_e32 v3, 0x3dbcf732, v49
	v_add_f32_e32 v25, v25, v31
	v_add_f32_e32 v118, v26, v2
	;; [unrolled: 1-line block ×12, first 2 shown]
	v_mul_f32_e32 v121, 0xbf06c442, v62
	v_add_f32_e32 v12, v12, v16
	v_add_f32_e32 v13, v13, v17
	;; [unrolled: 1-line block ×3, first 2 shown]
	v_fma_f32 v14, v34, s17, -v121
	v_mul_f32_e32 v122, 0x3f65296c, v65
	v_add_f32_e32 v13, v15, v13
	v_add_f32_e32 v14, v14, v0
	v_fma_f32 v15, v35, s9, -v122
	v_mul_f32_e32 v123, 0xbf7ee86f, v73
	v_add_f32_e32 v14, v15, v14
	v_fma_f32 v15, v37, s8, -v123
	v_add_f32_e32 v8, v8, v12
	v_mul_f32_e32 v125, 0x3f4c4adb, v76
	v_add_f32_e32 v14, v15, v14
	v_add_f32_e32 v9, v9, v13
	;; [unrolled: 1-line block ×3, first 2 shown]
	v_fma_f32 v8, v39, s10, -v125
	v_mul_f32_e32 v126, 0xbeb8f4ab, v78
	v_add_f32_e32 v9, v11, v9
	v_add_f32_e32 v8, v8, v14
	v_fma_f32 v11, v41, s6, -v126
	v_mul_f32_e32 v127, 0xbe3c28d5, v80
	v_add_f32_e32 v4, v4, v10
	v_add_f32_e32 v8, v11, v8
	v_fma_f32 v11, v43, s11, -v127
	v_add_f32_e32 v5, v5, v9
	v_add_f32_e32 v4, v6, v4
	v_mul_f32_e32 v6, 0x3f2c7751, v88
	v_add_f32_e32 v11, v11, v8
	v_add_f32_e32 v5, v7, v5
	v_fma_f32 v7, v45, s7, -v6
	v_mul_f32_e32 v128, 0xbf763a35, v93
	v_add_f32_e32 v7, v7, v11
	v_fma_f32 v9, v47, s16, -v128
	v_mul_f32_e32 v129, 0xbf4c4adb, v67
	v_add_f32_e32 v7, v9, v7
	v_mov_b32_e32 v9, v129
	v_add_f32_e32 v4, v32, v4
	v_mul_f32_e32 v32, 0x3f763a35, v74
	v_fmac_f32_e32 v9, 0xbf1a4643, v36
	v_mov_b32_e32 v10, v32
	v_add_f32_e32 v9, v9, v1
	v_add_f32_e32 v5, v33, v5
	v_fmac_f32_e32 v10, 0xbe8c1d8e, v38
	v_mul_f32_e32 v33, 0xbeb8f4ab, v77
	v_add_f32_e32 v9, v10, v9
	v_mov_b32_e32 v10, v33
	v_fmac_f32_e32 v10, 0x3f6eb680, v40
	v_mul_f32_e32 v130, 0xbf06c442, v79
	v_add_f32_e32 v9, v10, v9
	v_mov_b32_e32 v10, v130
	;; [unrolled: 4-line block ×5, first 2 shown]
	v_fmac_f32_e32 v10, 0xbf7ba420, v48
	v_mul_f32_e32 v134, 0xbf4c4adb, v62
	v_add_f32_e32 v9, v10, v9
	v_fma_f32 v10, v34, s10, -v134
	v_mul_f32_e32 v135, 0x3f763a35, v65
	v_add_f32_e32 v10, v10, v0
	v_fma_f32 v11, v35, s16, -v135
	;; [unrolled: 3-line block ×7, first 2 shown]
	v_mul_f32_e32 v141, 0x3f65296c, v99
	v_add_f32_e32 v11, v11, v10
	v_mov_b32_e32 v10, v141
	v_fmac_f32_e32 v10, 0x3ee437d1, v49
	v_mul_f32_e32 v142, 0x3f65296c, v93
	v_add_f32_e32 v10, v10, v9
	v_fma_f32 v9, v47, s9, -v142
	v_mul_f32_e32 v143, 0xbf763a35, v67
	v_add_f32_e32 v9, v9, v11
	v_mov_b32_e32 v11, v143
	v_mul_f32_e32 v144, 0x3f06c442, v74
	v_fmac_f32_e32 v11, 0xbe8c1d8e, v36
	v_mov_b32_e32 v12, v144
	v_add_f32_e32 v11, v11, v1
	v_fmac_f32_e32 v12, 0xbf59a7d5, v38
	v_mul_f32_e32 v145, 0x3f2c7751, v77
	v_add_f32_e32 v11, v12, v11
	v_mov_b32_e32 v12, v145
	v_fmac_f32_e32 v12, 0x3f3d2fb0, v40
	v_mul_f32_e32 v146, 0xbf65296c, v79
	v_add_f32_e32 v11, v12, v11
	v_mov_b32_e32 v12, v146
	;; [unrolled: 4-line block ×5, first 2 shown]
	v_fmac_f32_e32 v12, 0x3f6eb680, v48
	v_mul_f32_e32 v150, 0xbf763a35, v62
	v_add_f32_e32 v11, v12, v11
	v_fma_f32 v12, v34, s16, -v150
	v_mul_f32_e32 v151, 0x3f06c442, v65
	v_add_f32_e32 v12, v12, v0
	v_fma_f32 v13, v35, s17, -v151
	;; [unrolled: 3-line block ×7, first 2 shown]
	v_mul_f32_e32 v157, 0xbf4c4adb, v99
	v_add_f32_e32 v13, v13, v12
	v_mov_b32_e32 v12, v157
	v_fmac_f32_e32 v12, 0xbf1a4643, v49
	v_mul_f32_e32 v158, 0xbf4c4adb, v93
	v_add_f32_e32 v12, v12, v11
	v_fma_f32 v11, v47, s10, -v158
	v_mul_f32_e32 v159, 0xbf7ee86f, v67
	v_add_f32_e32 v11, v11, v13
	v_mov_b32_e32 v13, v159
	v_mul_f32_e32 v160, 0xbe3c28d5, v74
	v_fmac_f32_e32 v13, 0x3dbcf732, v36
	v_mov_b32_e32 v14, v160
	v_add_f32_e32 v13, v13, v1
	v_fmac_f32_e32 v14, 0xbf7ba420, v38
	v_mul_f32_e32 v161, 0x3f763a35, v77
	v_add_f32_e32 v13, v14, v13
	v_mov_b32_e32 v14, v161
	v_fmac_f32_e32 v14, 0xbe8c1d8e, v40
	v_mul_f32_e32 v162, 0x3eb8f4ab, v79
	v_add_f32_e32 v13, v14, v13
	v_mov_b32_e32 v14, v162
	;; [unrolled: 4-line block ×5, first 2 shown]
	v_fmac_f32_e32 v14, 0xbf1a4643, v48
	v_mul_f32_e32 v166, 0xbf7ee86f, v62
	v_mul_f32_e32 v26, 0xbf4c4adb, v78
	v_add_f32_e32 v13, v14, v13
	v_fma_f32 v14, v34, s8, -v166
	v_mul_f32_e32 v167, 0xbe3c28d5, v65
	v_fma_f32 v2, v41, s10, -v26
	v_mul_f32_e32 v27, 0x3f65296c, v80
	v_add_f32_e32 v14, v14, v0
	v_fma_f32 v15, v35, s11, -v167
	v_mul_f32_e32 v168, 0x3f763a35, v73
	v_add_f32_e32 v2, v2, v117
	v_fma_f32 v24, v43, s9, -v27
	v_mul_f32_e32 v31, 0xbf763a35, v88
	v_add_f32_e32 v14, v15, v14
	v_fma_f32 v15, v37, s16, -v168
	v_mul_f32_e32 v169, 0x3eb8f4ab, v76
	v_add_f32_e32 v2, v24, v2
	v_fma_f32 v24, v45, s16, -v31
	v_add_f32_e32 v14, v15, v14
	v_fma_f32 v15, v39, s6, -v169
	v_mul_f32_e32 v170, 0xbf65296c, v78
	v_add_f32_e32 v2, v24, v2
	v_mul_f32_e32 v24, 0x3f7ee86f, v93
	v_add_f32_e32 v14, v15, v14
	v_fma_f32 v15, v41, s9, -v170
	v_mul_f32_e32 v171, 0xbf06c442, v80
	v_fma_f32 v25, v47, s8, -v24
	v_add_f32_e32 v14, v15, v14
	v_fma_f32 v15, v43, s17, -v171
	v_mul_f32_e32 v172, 0x3f4c4adb, v88
	v_add_f32_e32 v2, v25, v2
	v_mul_f32_e32 v25, 0xbf06c442, v67
	v_add_f32_e32 v14, v15, v14
	v_fma_f32 v15, v45, s10, -v172
	v_mul_f32_e32 v173, 0x3f2c7751, v99
	v_mov_b32_e32 v22, v25
	v_mul_f32_e32 v23, 0x3f65296c, v74
	v_add_f32_e32 v15, v15, v14
	v_mov_b32_e32 v14, v173
	v_fmac_f32_e32 v22, 0xbf59a7d5, v36
	v_mov_b32_e32 v116, v23
	v_fmac_f32_e32 v14, 0x3f3d2fb0, v49
	v_mul_f32_e32 v174, 0x3f2c7751, v93
	v_add_f32_e32 v22, v22, v1
	v_fmac_f32_e32 v116, 0x3ee437d1, v38
	v_add_f32_e32 v14, v14, v13
	v_fma_f32 v13, v47, s7, -v174
	v_mul_f32_e32 v67, 0xbf65296c, v67
	v_add_f32_e32 v22, v116, v22
	v_mul_f32_e32 v116, 0xbf7ee86f, v77
	v_add_f32_e32 v13, v13, v15
	v_mov_b32_e32 v15, v67
	v_mul_f32_e32 v74, 0xbf4c4adb, v74
	v_mov_b32_e32 v117, v116
	v_fmac_f32_e32 v15, 0x3ee437d1, v36
	v_mov_b32_e32 v16, v74
	v_fmac_f32_e32 v117, 0x3dbcf732, v40
	v_add_f32_e32 v15, v15, v1
	v_fmac_f32_e32 v16, 0xbf1a4643, v38
	v_mul_f32_e32 v77, 0x3e3c28d5, v77
	v_add_f32_e32 v22, v117, v22
	v_mul_f32_e32 v117, 0x3f4c4adb, v79
	v_add_f32_e32 v15, v16, v15
	v_mov_b32_e32 v16, v77
	v_mov_b32_e32 v118, v117
	v_fmac_f32_e32 v16, 0xbf7ba420, v40
	v_mul_f32_e32 v79, 0x3f763a35, v79
	v_fmac_f32_e32 v118, 0xbf1a4643, v42
	v_add_f32_e32 v15, v16, v15
	v_mov_b32_e32 v16, v79
	v_add_f32_e32 v22, v118, v22
	v_mul_f32_e32 v118, 0xbeb8f4ab, v81
	v_fmac_f32_e32 v16, 0xbe8c1d8e, v42
	v_mul_f32_e32 v81, 0x3f2c7751, v81
	v_add_f32_e32 v15, v16, v15
	v_mov_b32_e32 v16, v81
	v_mul_f32_e32 v119, 0xbe3c28d5, v91
	v_fmac_f32_e32 v16, 0x3f3d2fb0, v44
	v_mul_f32_e32 v91, 0xbeb8f4ab, v91
	v_add_f32_e32 v15, v16, v15
	v_mov_b32_e32 v16, v91
	;; [unrolled: 5-line block ×3, first 2 shown]
	v_fmac_f32_e32 v16, 0x3dbcf732, v48
	v_mul_f32_e32 v62, 0xbf65296c, v62
	v_add_f32_e32 v15, v16, v15
	v_fma_f32 v16, v34, s9, -v62
	v_mul_f32_e32 v65, 0xbf4c4adb, v65
	v_add_f32_e32 v16, v16, v0
	v_fma_f32 v17, v35, s10, -v65
	;; [unrolled: 3-line block ×5, first 2 shown]
	v_mul_f32_e32 v80, 0xbeb8f4ab, v80
	v_mov_b32_e32 v18, v118
	v_add_f32_e32 v16, v17, v16
	v_fma_f32 v17, v43, s6, -v80
	v_mul_f32_e32 v88, 0xbf7ee86f, v88
	v_fmac_f32_e32 v18, 0x3f6eb680, v44
	v_mov_b32_e32 v19, v119
	v_mul_f32_e32 v124, 0xbf763a35, v99
	v_add_f32_e32 v16, v17, v16
	v_fma_f32 v17, v45, s8, -v88
	v_mul_f32_e32 v99, 0xbf06c442, v99
	v_add_f32_e32 v18, v18, v22
	v_fmac_f32_e32 v19, 0xbf7ba420, v46
	v_add_f32_e32 v17, v17, v16
	v_mov_b32_e32 v16, v99
	v_add_f32_e32 v18, v19, v18
	v_mov_b32_e32 v19, v120
	v_fmac_f32_e32 v16, 0xbf59a7d5, v49
	v_mul_f32_e32 v93, 0xbf06c442, v93
	v_fmac_f32_e32 v19, 0x3f3d2fb0, v48
	v_mov_b32_e32 v8, v124
	v_add_f32_e32 v16, v16, v15
	v_fma_f32 v15, v47, s17, -v93
	v_add_f32_e32 v18, v19, v18
	v_fmac_f32_e32 v8, 0xbe8c1d8e, v49
	v_add_f32_e32 v15, v15, v17
	v_mul_f32_e32 v17, 0x3f3d2fb0, v36
	v_mul_f32_e32 v19, 0x3f3d2fb0, v34
	v_add_f32_e32 v8, v8, v18
	v_add_f32_e32 v17, v103, v17
	v_mul_f32_e32 v18, 0x3dbcf732, v38
	v_sub_f32_e32 v19, v19, v82
	v_mul_f32_e32 v20, 0x3dbcf732, v35
	v_add_f32_e32 v18, v104, v18
	v_add_f32_e32 v17, v17, v1
	v_sub_f32_e32 v20, v20, v87
	v_add_f32_e32 v19, v19, v0
	v_add_f32_e32 v17, v18, v17
	v_mul_f32_e32 v18, 0xbf1a4643, v40
	v_add_f32_e32 v19, v20, v19
	v_mul_f32_e32 v20, 0xbf1a4643, v37
	v_add_f32_e32 v18, v107, v18
	v_sub_f32_e32 v20, v20, v89
	v_add_f32_e32 v17, v18, v17
	v_mul_f32_e32 v18, 0xbf7ba420, v42
	v_add_f32_e32 v19, v20, v19
	v_mul_f32_e32 v20, 0xbf7ba420, v39
	v_add_f32_e32 v18, v110, v18
	v_sub_f32_e32 v20, v20, v90
	;; [unrolled: 6-line block ×6, first 2 shown]
	v_add_f32_e32 v18, v18, v17
	v_add_f32_e32 v17, v20, v19
	v_mul_f32_e32 v19, 0x3f6eb680, v36
	v_mul_f32_e32 v21, 0x3f6eb680, v34
	v_add_f32_e32 v19, v52, v19
	v_mul_f32_e32 v20, 0x3f3d2fb0, v38
	v_sub_f32_e32 v21, v21, v50
	v_mul_f32_e32 v22, 0x3f3d2fb0, v35
	v_add_f32_e32 v20, v54, v20
	v_add_f32_e32 v19, v19, v1
	v_sub_f32_e32 v22, v22, v51
	v_add_f32_e32 v21, v21, v0
	v_add_f32_e32 v19, v20, v19
	v_mul_f32_e32 v20, 0x3ee437d1, v40
	v_add_f32_e32 v21, v22, v21
	v_mul_f32_e32 v22, 0x3ee437d1, v37
	v_add_f32_e32 v20, v56, v20
	v_sub_f32_e32 v22, v22, v53
	v_add_f32_e32 v19, v20, v19
	v_mul_f32_e32 v20, 0x3dbcf732, v42
	v_add_f32_e32 v21, v22, v21
	v_mul_f32_e32 v22, 0x3dbcf732, v39
	v_add_f32_e32 v20, v58, v20
	v_sub_f32_e32 v22, v22, v55
	;; [unrolled: 6-line block ×6, first 2 shown]
	v_add_f32_e32 v20, v20, v19
	v_add_f32_e32 v19, v22, v21
	v_fma_f32 v21, v36, s11, -v98
	v_add_f32_e32 v21, v21, v1
	v_fma_f32 v22, v38, s6, -v101
	;; [unrolled: 2-line block ×7, first 2 shown]
	v_fmac_f32_e32 v111, 0xbf7ba420, v34
	v_add_f32_e32 v21, v22, v21
	v_add_f32_e32 v22, v111, v0
	v_fmac_f32_e32 v28, 0x3f6eb680, v35
	v_add_f32_e32 v22, v28, v22
	v_fmac_f32_e32 v29, 0xbf59a7d5, v37
	;; [unrolled: 2-line block ×6, first 2 shown]
	v_add_f32_e32 v26, v31, v22
	v_fma_f32 v22, v49, s8, -v94
	v_fmac_f32_e32 v24, 0x3dbcf732, v47
	v_add_f32_e32 v22, v22, v21
	v_add_f32_e32 v21, v24, v26
	v_fma_f32 v24, v36, s17, -v25
	v_add_f32_e32 v24, v24, v1
	v_fma_f32 v23, v38, s9, -v23
	v_add_f32_e32 v23, v23, v24
	v_fma_f32 v24, v40, s8, -v116
	v_add_f32_e32 v23, v24, v23
	v_fma_f32 v24, v42, s10, -v117
	v_add_f32_e32 v23, v24, v23
	v_fma_f32 v24, v44, s6, -v118
	v_add_f32_e32 v23, v24, v23
	v_fma_f32 v24, v46, s11, -v119
	v_add_f32_e32 v23, v24, v23
	v_fma_f32 v24, v48, s7, -v120
	v_fmac_f32_e32 v121, 0xbf59a7d5, v34
	v_add_f32_e32 v23, v24, v23
	v_add_f32_e32 v24, v121, v0
	v_fmac_f32_e32 v122, 0x3ee437d1, v35
	v_add_f32_e32 v24, v122, v24
	v_fmac_f32_e32 v123, 0x3dbcf732, v37
	;; [unrolled: 2-line block ×3, first 2 shown]
	v_add_f32_e32 v25, v125, v24
	v_fma_f32 v24, v49, s16, -v124
	v_fmac_f32_e32 v126, 0x3f6eb680, v41
	v_add_f32_e32 v24, v24, v23
	v_add_f32_e32 v23, v126, v25
	v_fmac_f32_e32 v127, 0xbf7ba420, v43
	v_add_f32_e32 v23, v127, v23
	v_fmac_f32_e32 v6, 0x3f3d2fb0, v45
	v_add_f32_e32 v6, v6, v23
	v_fmac_f32_e32 v128, 0xbe8c1d8e, v47
	v_add_f32_e32 v23, v128, v6
	v_fma_f32 v6, v36, s10, -v129
	v_add_f32_e32 v6, v6, v1
	v_fma_f32 v25, v38, s16, -v32
	v_add_f32_e32 v6, v25, v6
	v_fma_f32 v25, v40, s6, -v33
	v_add_f32_e32 v6, v25, v6
	v_fma_f32 v25, v42, s17, -v130
	v_add_f32_e32 v6, v25, v6
	v_fma_f32 v25, v44, s8, -v131
	v_add_f32_e32 v6, v25, v6
	v_fma_f32 v25, v46, s7, -v132
	v_add_f32_e32 v6, v25, v6
	v_fma_f32 v25, v48, s11, -v133
	v_add_f32_e32 v6, v25, v6
	v_fma_f32 v25, v49, s9, -v141
	v_fmac_f32_e32 v134, 0xbf1a4643, v34
	v_add_f32_e32 v26, v25, v6
	v_add_f32_e32 v6, v134, v0
	v_fmac_f32_e32 v135, 0xbe8c1d8e, v35
	v_add_f32_e32 v6, v135, v6
	v_fmac_f32_e32 v136, 0x3f6eb680, v37
	v_add_f32_e32 v6, v136, v6
	v_fmac_f32_e32 v137, 0xbf59a7d5, v39
	v_add_f32_e32 v6, v137, v6
	v_fmac_f32_e32 v138, 0x3dbcf732, v41
	v_add_f32_e32 v6, v138, v6
	v_fmac_f32_e32 v139, 0x3f3d2fb0, v43
	v_add_f32_e32 v6, v139, v6
	v_fmac_f32_e32 v140, 0xbf7ba420, v45
	v_add_f32_e32 v6, v140, v6
	v_fmac_f32_e32 v142, 0x3ee437d1, v47
	v_add_f32_e32 v25, v142, v6
	v_fma_f32 v6, v36, s16, -v143
	v_add_f32_e32 v6, v6, v1
	v_fma_f32 v27, v38, s17, -v144
	v_add_f32_e32 v6, v27, v6
	v_fma_f32 v27, v40, s7, -v145
	v_add_f32_e32 v6, v27, v6
	v_fma_f32 v27, v42, s9, -v146
	v_add_f32_e32 v6, v27, v6
	v_fma_f32 v27, v44, s11, -v147
	v_add_f32_e32 v6, v27, v6
	v_fma_f32 v27, v46, s8, -v148
	v_add_f32_e32 v6, v27, v6
	v_fma_f32 v27, v48, s6, -v149
	v_add_f32_e32 v6, v27, v6
	v_fma_f32 v27, v49, s10, -v157
	v_fmac_f32_e32 v150, 0xbe8c1d8e, v34
	v_add_f32_e32 v28, v27, v6
	v_add_f32_e32 v6, v150, v0
	v_fmac_f32_e32 v151, 0xbf59a7d5, v35
	v_add_f32_e32 v6, v151, v6
	v_fmac_f32_e32 v152, 0x3f3d2fb0, v37
	v_add_f32_e32 v6, v152, v6
	v_fmac_f32_e32 v153, 0x3ee437d1, v39
	v_add_f32_e32 v6, v153, v6
	v_fmac_f32_e32 v154, 0xbf7ba420, v41
	;; [unrolled: 32-line block ×3, first 2 shown]
	v_add_f32_e32 v6, v170, v6
	v_fmac_f32_e32 v171, 0xbf59a7d5, v43
	v_add_f32_e32 v6, v171, v6
	v_fmac_f32_e32 v172, 0xbf1a4643, v45
	;; [unrolled: 2-line block ×3, first 2 shown]
	v_add_f32_e32 v29, v174, v6
	v_fma_f32 v6, v36, s9, -v67
	v_add_f32_e32 v1, v6, v1
	v_fma_f32 v6, v38, s10, -v74
	;; [unrolled: 2-line block ×3, first 2 shown]
	v_fmac_f32_e32 v62, 0x3ee437d1, v34
	v_add_f32_e32 v1, v6, v1
	v_fma_f32 v6, v42, s16, -v79
	v_add_f32_e32 v0, v62, v0
	v_fmac_f32_e32 v65, 0xbf1a4643, v35
	v_add_f32_e32 v1, v6, v1
	v_fma_f32 v6, v44, s7, -v81
	v_add_f32_e32 v0, v65, v0
	;; [unrolled: 4-line block ×5, first 2 shown]
	v_fmac_f32_e32 v80, 0x3f6eb680, v43
	v_add_f32_e32 v1, v6, v1
	v_add_f32_e32 v0, v80, v0
	v_fmac_f32_e32 v88, 0x3dbcf732, v45
	v_mul_lo_u16_e32 v6, 17, v83
	v_add_f32_e32 v0, v88, v0
	v_fmac_f32_e32 v93, 0xbf59a7d5, v47
	v_add_lshl_u32 v6, v85, v6, 3
	v_add_f32_e32 v0, v93, v0
	ds_write2_b64 v6, v[4:5], v[19:20] offset1:1
	ds_write2_b64 v6, v[17:18], v[15:16] offset0:2 offset1:3
	ds_write2_b64 v6, v[13:14], v[11:12] offset0:4 offset1:5
	;; [unrolled: 1-line block ×7, first 2 shown]
	ds_write_b64 v6, v[69:70] offset:128
.LBB0_7:
	s_or_b64 exec, exec, s[4:5]
	s_load_dwordx4 s[4:7], s[0:1], 0x0
	v_add_co_u32_e64 v47, s[0:1], 34, v83
	s_movk_i32 s0, 0xf1
	v_mul_lo_u16_sdwa v8, v47, s0 dst_sel:DWORD dst_unused:UNUSED_PAD src0_sel:BYTE_0 src1_sel:DWORD
	v_lshlrev_b32_e32 v46, 5, v83
	v_lshrrev_b16_e32 v8, 12, v8
	s_waitcnt lgkmcnt(0)
	; wave barrier
	s_waitcnt lgkmcnt(0)
	global_load_dwordx4 v[4:7], v46, s[2:3]
	global_load_dwordx4 v[0:3], v46, s[2:3] offset:16
	v_mul_lo_u16_e32 v8, 17, v8
	v_sub_u16_e32 v48, v47, v8
	v_lshlrev_b16_e32 v8, 2, v48
	v_and_b32_e32 v8, 0xfc, v8
	v_lshlrev_b32_e32 v16, 3, v8
	global_load_dwordx4 v[12:15], v16, s[2:3]
	global_load_dwordx4 v[8:11], v16, s[2:3] offset:16
	v_add_lshl_u32 v87, v85, v83, 3
	ds_read2_b64 v[16:19], v87 offset1:17
	ds_read2_b64 v[20:23], v87 offset0:34 offset1:51
	ds_read2_b64 v[24:27], v87 offset0:102 offset1:119
	;; [unrolled: 1-line block ×6, first 2 shown]
	ds_read_b64 v[44:45], v87 offset:1904
	v_mov_b32_e32 v50, s3
	v_add_co_u32_e64 v46, s[0:1], s2, v46
	v_lshlrev_b32_e32 v49, 4, v83
	v_addc_co_u32_e64 v50, s[0:1], 0, v50, s[0:1]
	s_waitcnt lgkmcnt(0)
	; wave barrier
	s_waitcnt vmcnt(3) lgkmcnt(0)
	v_mul_f32_e32 v51, v23, v5
	v_mul_f32_e32 v53, v25, v7
	s_waitcnt vmcnt(2)
	v_mul_f32_e32 v55, v31, v1
	v_fma_f32 v51, v22, v4, -v51
	v_mul_f32_e32 v52, v22, v5
	v_mul_f32_e32 v56, v30, v1
	v_fma_f32 v53, v24, v6, -v53
	v_fma_f32 v30, v30, v0, -v55
	v_add_f32_e32 v22, v16, v51
	v_mul_f32_e32 v54, v24, v7
	v_mul_f32_e32 v57, v33, v3
	;; [unrolled: 1-line block ×3, first 2 shown]
	v_fmac_f32_e32 v52, v23, v4
	v_add_f32_e32 v23, v53, v30
	v_add_f32_e32 v24, v22, v53
	v_mul_f32_e32 v59, v37, v5
	v_mul_f32_e32 v60, v36, v5
	;; [unrolled: 1-line block ×4, first 2 shown]
	v_fmac_f32_e32 v54, v25, v6
	v_fma_f32 v25, v32, v2, -v57
	v_fmac_f32_e32 v58, v33, v2
	v_fma_f32 v22, -0.5, v23, v16
	v_add_f32_e32 v23, v24, v30
	v_mul_f32_e32 v64, v40, v1
	v_mul_f32_e32 v65, v35, v3
	v_fmac_f32_e32 v56, v31, v0
	v_fma_f32 v55, v36, v4, -v59
	v_fmac_f32_e32 v60, v37, v4
	v_fma_f32 v37, v26, v6, -v61
	v_fmac_f32_e32 v62, v27, v6
	v_sub_f32_e32 v27, v52, v58
	v_mov_b32_e32 v24, v22
	v_add_f32_e32 v26, v23, v25
	s_waitcnt vmcnt(1)
	v_mul_f32_e32 v23, v39, v13
	v_mul_f32_e32 v31, v29, v15
	;; [unrolled: 1-line block ×4, first 2 shown]
	v_fmac_f32_e32 v64, v41, v0
	v_fma_f32 v41, v34, v2, -v65
	v_fmac_f32_e32 v24, 0x3f737871, v27
	v_fma_f32 v65, v38, v12, -v23
	v_fma_f32 v67, v28, v14, -v31
	v_fmac_f32_e32 v59, v29, v14
	v_sub_f32_e32 v23, v54, v56
	v_sub_f32_e32 v28, v51, v53
	v_sub_f32_e32 v29, v25, v30
	v_fmac_f32_e32 v22, 0xbf737871, v27
	v_fmac_f32_e32 v24, 0x3f167918, v23
	v_add_f32_e32 v28, v28, v29
	v_fmac_f32_e32 v22, 0xbf167918, v23
	v_fmac_f32_e32 v24, 0x3e9e377a, v28
	;; [unrolled: 1-line block ×3, first 2 shown]
	v_add_f32_e32 v28, v51, v25
	v_fma_f32 v16, -0.5, v28, v16
	v_mov_b32_e32 v28, v16
	v_fmac_f32_e32 v28, 0xbf737871, v23
	v_fmac_f32_e32 v16, 0x3f737871, v23
	v_add_f32_e32 v23, v17, v52
	v_add_f32_e32 v23, v23, v54
	;; [unrolled: 1-line block ×3, first 2 shown]
	v_fmac_f32_e32 v28, 0x3f167918, v27
	v_fmac_f32_e32 v16, 0xbf167918, v27
	v_add_f32_e32 v27, v23, v58
	v_add_f32_e32 v23, v54, v56
	v_sub_f32_e32 v29, v53, v51
	v_sub_f32_e32 v31, v30, v25
	v_fma_f32 v23, -0.5, v23, v17
	s_waitcnt vmcnt(0)
	v_mul_f32_e32 v32, v43, v9
	v_add_f32_e32 v29, v29, v31
	v_sub_f32_e32 v31, v51, v25
	v_mov_b32_e32 v25, v23
	v_fma_f32 v73, v42, v8, -v32
	v_fmac_f32_e32 v28, 0x3e9e377a, v29
	v_fmac_f32_e32 v16, 0x3e9e377a, v29
	;; [unrolled: 1-line block ×3, first 2 shown]
	v_sub_f32_e32 v30, v53, v30
	v_sub_f32_e32 v29, v52, v54
	;; [unrolled: 1-line block ×3, first 2 shown]
	v_fmac_f32_e32 v23, 0x3f737871, v31
	v_fmac_f32_e32 v25, 0xbf167918, v30
	v_add_f32_e32 v29, v29, v32
	v_fmac_f32_e32 v23, 0x3f167918, v30
	v_fmac_f32_e32 v25, 0x3e9e377a, v29
	v_fmac_f32_e32 v23, 0x3e9e377a, v29
	v_add_f32_e32 v29, v52, v58
	v_fma_f32 v17, -0.5, v29, v17
	v_mul_f32_e32 v61, v42, v9
	v_mul_f32_e32 v33, v45, v11
	v_mov_b32_e32 v29, v17
	v_fma_f32 v40, v40, v0, -v63
	v_fmac_f32_e32 v61, v43, v8
	v_fma_f32 v43, v44, v10, -v33
	v_fmac_f32_e32 v29, 0x3f737871, v30
	v_sub_f32_e32 v32, v54, v52
	v_sub_f32_e32 v33, v56, v58
	v_fmac_f32_e32 v17, 0xbf737871, v30
	v_mul_f32_e32 v66, v34, v3
	v_fmac_f32_e32 v29, 0xbf167918, v31
	v_add_f32_e32 v32, v32, v33
	v_fmac_f32_e32 v17, 0x3f167918, v31
	v_add_f32_e32 v31, v37, v40
	v_fmac_f32_e32 v66, v35, v2
	v_fmac_f32_e32 v29, 0x3e9e377a, v32
	;; [unrolled: 1-line block ×3, first 2 shown]
	v_fma_f32 v32, -0.5, v31, v18
	v_sub_f32_e32 v31, v60, v66
	v_mov_b32_e32 v34, v32
	v_fmac_f32_e32 v34, 0x3f737871, v31
	v_sub_f32_e32 v33, v62, v64
	v_sub_f32_e32 v35, v55, v37
	v_sub_f32_e32 v36, v41, v40
	v_fmac_f32_e32 v32, 0xbf737871, v31
	v_fmac_f32_e32 v34, 0x3f167918, v33
	v_add_f32_e32 v35, v35, v36
	v_fmac_f32_e32 v32, 0xbf167918, v33
	v_fmac_f32_e32 v34, 0x3e9e377a, v35
	;; [unrolled: 1-line block ×3, first 2 shown]
	v_add_f32_e32 v35, v55, v41
	v_add_f32_e32 v30, v18, v55
	v_fma_f32 v18, -0.5, v35, v18
	v_mov_b32_e32 v36, v18
	v_mul_f32_e32 v57, v38, v13
	v_fmac_f32_e32 v36, 0xbf737871, v33
	v_sub_f32_e32 v35, v37, v55
	v_sub_f32_e32 v38, v40, v41
	v_fmac_f32_e32 v18, 0x3f737871, v33
	v_add_f32_e32 v33, v62, v64
	v_fmac_f32_e32 v36, 0x3f167918, v31
	v_add_f32_e32 v35, v35, v38
	v_fmac_f32_e32 v18, 0xbf167918, v31
	v_fma_f32 v33, -0.5, v33, v19
	v_add_f32_e32 v30, v30, v37
	v_fmac_f32_e32 v36, 0x3e9e377a, v35
	v_fmac_f32_e32 v18, 0x3e9e377a, v35
	v_sub_f32_e32 v38, v55, v41
	v_mov_b32_e32 v35, v33
	v_fmac_f32_e32 v57, v39, v12
	v_add_f32_e32 v30, v30, v40
	v_fmac_f32_e32 v35, 0xbf737871, v38
	v_sub_f32_e32 v39, v37, v40
	v_sub_f32_e32 v37, v60, v62
	;; [unrolled: 1-line block ×3, first 2 shown]
	v_fmac_f32_e32 v33, 0x3f737871, v38
	v_fmac_f32_e32 v35, 0xbf167918, v39
	v_add_f32_e32 v37, v37, v40
	v_fmac_f32_e32 v33, 0x3f167918, v39
	v_fmac_f32_e32 v35, 0x3e9e377a, v37
	;; [unrolled: 1-line block ×3, first 2 shown]
	v_add_f32_e32 v37, v60, v66
	v_add_f32_e32 v31, v19, v60
	v_fmac_f32_e32 v19, -0.5, v37
	v_mov_b32_e32 v37, v19
	v_add_f32_e32 v30, v30, v41
	v_fmac_f32_e32 v37, 0x3f737871, v39
	v_sub_f32_e32 v40, v62, v60
	v_sub_f32_e32 v41, v64, v66
	v_fmac_f32_e32 v19, 0xbf737871, v39
	v_mul_f32_e32 v63, v44, v11
	v_fmac_f32_e32 v37, 0xbf167918, v38
	v_add_f32_e32 v40, v40, v41
	v_fmac_f32_e32 v19, 0x3f167918, v38
	v_add_f32_e32 v39, v67, v73
	v_fmac_f32_e32 v63, v45, v10
	v_fmac_f32_e32 v37, 0x3e9e377a, v40
	;; [unrolled: 1-line block ×3, first 2 shown]
	v_fma_f32 v40, -0.5, v39, v20
	v_sub_f32_e32 v39, v57, v63
	v_mov_b32_e32 v42, v40
	v_fmac_f32_e32 v42, 0x3f737871, v39
	v_sub_f32_e32 v41, v59, v61
	v_sub_f32_e32 v44, v65, v67
	;; [unrolled: 1-line block ×3, first 2 shown]
	v_fmac_f32_e32 v40, 0xbf737871, v39
	v_fmac_f32_e32 v42, 0x3f167918, v41
	v_add_f32_e32 v44, v44, v45
	v_fmac_f32_e32 v40, 0xbf167918, v41
	v_fmac_f32_e32 v42, 0x3e9e377a, v44
	;; [unrolled: 1-line block ×3, first 2 shown]
	v_add_f32_e32 v44, v65, v43
	v_add_f32_e32 v38, v20, v65
	v_fma_f32 v20, -0.5, v44, v20
	v_mov_b32_e32 v44, v20
	v_add_f32_e32 v38, v38, v67
	v_fmac_f32_e32 v44, 0xbf737871, v41
	v_fmac_f32_e32 v20, 0x3f737871, v41
	v_add_f32_e32 v41, v59, v61
	v_add_f32_e32 v38, v38, v73
	v_sub_f32_e32 v45, v67, v65
	v_sub_f32_e32 v51, v73, v43
	v_fma_f32 v41, -0.5, v41, v21
	v_add_f32_e32 v38, v38, v43
	v_fmac_f32_e32 v44, 0x3f167918, v39
	v_add_f32_e32 v45, v45, v51
	v_fmac_f32_e32 v20, 0xbf167918, v39
	v_sub_f32_e32 v51, v65, v43
	v_mov_b32_e32 v43, v41
	v_fmac_f32_e32 v44, 0x3e9e377a, v45
	v_fmac_f32_e32 v20, 0x3e9e377a, v45
	;; [unrolled: 1-line block ×3, first 2 shown]
	v_sub_f32_e32 v52, v67, v73
	v_sub_f32_e32 v45, v57, v59
	;; [unrolled: 1-line block ×3, first 2 shown]
	v_fmac_f32_e32 v41, 0x3f737871, v51
	v_fmac_f32_e32 v43, 0xbf167918, v52
	v_add_f32_e32 v45, v45, v53
	v_fmac_f32_e32 v41, 0x3f167918, v52
	v_add_f32_e32 v31, v31, v62
	v_fmac_f32_e32 v43, 0x3e9e377a, v45
	v_fmac_f32_e32 v41, 0x3e9e377a, v45
	v_add_f32_e32 v45, v57, v63
	v_add_f32_e32 v31, v31, v64
	;; [unrolled: 1-line block ×3, first 2 shown]
	v_fmac_f32_e32 v21, -0.5, v45
	v_add_f32_e32 v31, v31, v66
	v_add_f32_e32 v39, v39, v59
	v_mov_b32_e32 v45, v21
	ds_write2_b64 v87, v[26:27], v[24:25] offset1:17
	ds_write2_b64 v87, v[28:29], v[16:17] offset0:34 offset1:51
	ds_write2_b64 v87, v[22:23], v[30:31] offset0:68 offset1:85
	;; [unrolled: 1-line block ×4, first 2 shown]
	v_and_b32_e32 v16, 0xff, v48
	v_add_f32_e32 v39, v39, v61
	v_fmac_f32_e32 v45, 0x3f737871, v52
	v_sub_f32_e32 v53, v59, v57
	v_sub_f32_e32 v54, v61, v63
	v_fmac_f32_e32 v21, 0xbf737871, v52
	v_add_lshl_u32 v88, v85, v16, 3
	v_sub_co_u32_e64 v16, s[0:1], v46, v49
	v_add_f32_e32 v39, v39, v63
	v_fmac_f32_e32 v45, 0xbf167918, v51
	v_add_f32_e32 v53, v53, v54
	v_fmac_f32_e32 v21, 0x3f167918, v51
	v_subbrev_co_u32_e64 v17, s[0:1], 0, v50, s[0:1]
	v_fmac_f32_e32 v45, 0x3e9e377a, v53
	v_fmac_f32_e32 v21, 0x3e9e377a, v53
	ds_write2_b64 v88, v[38:39], v[42:43] offset0:170 offset1:187
	ds_write2_b64 v88, v[44:45], v[20:21] offset0:204 offset1:221
	ds_write_b64 v88, v[40:41] offset:1904
	s_waitcnt lgkmcnt(0)
	; wave barrier
	s_waitcnt lgkmcnt(0)
	global_load_dwordx4 v[16:19], v[16:17], off offset:544
	v_add_u32_e32 v20, 0x110, v49
	global_load_dwordx4 v[20:23], v20, s[2:3] offset:544
	v_lshlrev_b32_e32 v24, 4, v47
	global_load_dwordx4 v[24:27], v24, s[2:3] offset:544
	v_add_u32_e32 v28, 0x330, v49
	global_load_dwordx4 v[28:31], v28, s[2:3] offset:544
	v_add_u32_e32 v32, 0x440, v49
	global_load_dwordx4 v[32:35], v32, s[2:3] offset:544
	ds_read2_b64 v[40:43], v87 offset1:17
	ds_read2_b64 v[48:51], v87 offset0:68 offset1:85
	ds_read2_b64 v[36:39], v87 offset0:170 offset1:187
	;; [unrolled: 1-line block ×6, first 2 shown]
	ds_read_b64 v[64:65], v87 offset:1904
	s_waitcnt vmcnt(4) lgkmcnt(6)
	v_mul_f32_e32 v66, v51, v17
	v_fma_f32 v66, v50, v16, -v66
	v_mul_f32_e32 v50, v50, v17
	v_fmac_f32_e32 v50, v51, v16
	s_waitcnt lgkmcnt(5)
	v_mul_f32_e32 v51, v37, v19
	v_fma_f32 v51, v36, v18, -v51
	v_mul_f32_e32 v67, v36, v19
	s_waitcnt vmcnt(3) lgkmcnt(4)
	v_mul_f32_e32 v36, v53, v21
	v_fma_f32 v73, v52, v20, -v36
	v_mul_f32_e32 v36, v39, v23
	v_fma_f32 v75, v38, v22, -v36
	s_waitcnt vmcnt(2)
	v_mul_f32_e32 v36, v55, v25
	v_fma_f32 v77, v54, v24, -v36
	s_waitcnt lgkmcnt(2)
	v_mul_f32_e32 v36, v57, v27
	v_fma_f32 v79, v56, v26, -v36
	s_waitcnt vmcnt(1) lgkmcnt(1)
	v_mul_f32_e32 v36, v61, v29
	v_fmac_f32_e32 v67, v37, v18
	v_mul_f32_e32 v76, v38, v23
	v_fma_f32 v81, v60, v28, -v36
	v_mul_f32_e32 v36, v59, v31
	v_mul_f32_e32 v74, v52, v21
	v_fmac_f32_e32 v76, v39, v22
	v_fma_f32 v89, v58, v30, -v36
	s_waitcnt vmcnt(0)
	v_mul_f32_e32 v36, v63, v33
	v_add_f32_e32 v39, v50, v67
	v_fmac_f32_e32 v74, v53, v20
	v_fma_f32 v91, v62, v32, -v36
	s_waitcnt lgkmcnt(0)
	v_mul_f32_e32 v36, v65, v35
	v_add_f32_e32 v37, v66, v51
	v_fma_f32 v53, -0.5, v39, v41
	v_fma_f32 v93, v64, v34, -v36
	v_add_f32_e32 v36, v40, v66
	v_fma_f32 v52, -0.5, v37, v40
	v_sub_f32_e32 v40, v66, v51
	v_mov_b32_e32 v39, v53
	v_fmac_f32_e32 v39, 0xbf5db3d7, v40
	v_fmac_f32_e32 v53, 0x3f5db3d7, v40
	v_add_f32_e32 v40, v42, v73
	v_mul_f32_e32 v78, v54, v25
	v_add_f32_e32 v54, v40, v75
	v_add_f32_e32 v40, v73, v75
	v_sub_f32_e32 v37, v50, v67
	v_mov_b32_e32 v38, v52
	v_fma_f32 v42, -0.5, v40, v42
	v_fmac_f32_e32 v38, 0x3f5db3d7, v37
	v_fmac_f32_e32 v52, 0xbf5db3d7, v37
	v_add_f32_e32 v37, v41, v50
	v_sub_f32_e32 v41, v74, v76
	v_mov_b32_e32 v40, v42
	v_fmac_f32_e32 v40, 0x3f5db3d7, v41
	v_fmac_f32_e32 v42, 0xbf5db3d7, v41
	v_add_f32_e32 v41, v43, v74
	v_fmac_f32_e32 v78, v55, v24
	v_add_f32_e32 v55, v41, v76
	v_add_f32_e32 v41, v74, v76
	v_fmac_f32_e32 v43, -0.5, v41
	v_sub_f32_e32 v50, v73, v75
	v_mov_b32_e32 v41, v43
	v_fmac_f32_e32 v41, 0xbf5db3d7, v50
	v_fmac_f32_e32 v43, 0x3f5db3d7, v50
	v_add_f32_e32 v50, v44, v77
	v_mul_f32_e32 v80, v56, v27
	v_add_f32_e32 v56, v50, v79
	v_add_f32_e32 v50, v77, v79
	v_fmac_f32_e32 v80, v57, v26
	v_mul_f32_e32 v82, v60, v29
	v_fma_f32 v60, -0.5, v50, v44
	v_mul_f32_e32 v90, v58, v31
	v_sub_f32_e32 v44, v78, v80
	v_mov_b32_e32 v58, v60
	v_fmac_f32_e32 v58, 0x3f5db3d7, v44
	v_fmac_f32_e32 v60, 0xbf5db3d7, v44
	v_add_f32_e32 v44, v45, v78
	v_add_f32_e32 v57, v44, v80
	;; [unrolled: 1-line block ×3, first 2 shown]
	v_fmac_f32_e32 v82, v61, v28
	v_fma_f32 v61, -0.5, v44, v45
	v_fmac_f32_e32 v90, v59, v30
	v_sub_f32_e32 v44, v77, v79
	v_mov_b32_e32 v59, v61
	v_fmac_f32_e32 v59, 0xbf5db3d7, v44
	v_fmac_f32_e32 v61, 0x3f5db3d7, v44
	v_add_f32_e32 v44, v46, v81
	v_mul_f32_e32 v92, v62, v33
	v_add_f32_e32 v62, v44, v89
	v_add_f32_e32 v44, v81, v89
	v_fma_f32 v46, -0.5, v44, v46
	v_sub_f32_e32 v45, v82, v90
	v_mov_b32_e32 v44, v46
	v_fmac_f32_e32 v44, 0x3f5db3d7, v45
	v_fmac_f32_e32 v46, 0xbf5db3d7, v45
	v_add_f32_e32 v45, v47, v82
	v_fmac_f32_e32 v92, v63, v32
	v_add_f32_e32 v63, v45, v90
	v_add_f32_e32 v45, v82, v90
	v_fmac_f32_e32 v47, -0.5, v45
	v_sub_f32_e32 v50, v81, v89
	v_mov_b32_e32 v45, v47
	v_fmac_f32_e32 v45, 0xbf5db3d7, v50
	v_fmac_f32_e32 v47, 0x3f5db3d7, v50
	v_add_f32_e32 v50, v48, v91
	v_mul_f32_e32 v94, v64, v35
	v_add_f32_e32 v64, v50, v93
	v_add_f32_e32 v50, v91, v93
	v_fmac_f32_e32 v94, v65, v34
	v_fma_f32 v48, -0.5, v50, v48
	v_sub_f32_e32 v50, v92, v94
	v_mov_b32_e32 v66, v48
	v_fmac_f32_e32 v66, 0x3f5db3d7, v50
	v_fmac_f32_e32 v48, 0xbf5db3d7, v50
	v_add_f32_e32 v50, v49, v92
	v_add_f32_e32 v65, v50, v94
	;; [unrolled: 1-line block ×3, first 2 shown]
	v_fmac_f32_e32 v49, -0.5, v50
	v_add_f32_e32 v37, v37, v67
	v_sub_f32_e32 v50, v91, v93
	v_mov_b32_e32 v67, v49
	v_add_f32_e32 v36, v36, v51
	v_fmac_f32_e32 v67, 0xbf5db3d7, v50
	v_fmac_f32_e32 v49, 0x3f5db3d7, v50
	v_lshl_add_u32 v89, v83, 3, v86
	v_add_u32_e32 v73, v84, v86
	ds_write2_b64 v89, v[36:37], v[54:55] offset1:17
	ds_write2_b64 v89, v[38:39], v[40:41] offset0:85 offset1:102
	ds_write2_b64 v89, v[52:53], v[42:43] offset0:170 offset1:187
	ds_write_b64 v89, v[56:57] offset:272
	ds_write_b64 v73, v[58:59] offset:952
	;; [unrolled: 1-line block ×9, first 2 shown]
	s_waitcnt lgkmcnt(0)
	; wave barrier
	s_waitcnt lgkmcnt(0)
	s_and_saveexec_b64 s[0:1], vcc
	s_cbranch_execz .LBB0_9
; %bb.8:
	global_load_dwordx2 v[50:51], v84, s[12:13] offset:2040
	s_add_u32 s2, s12, 0x7f8
	s_addc_u32 s3, s13, 0
	global_load_dwordx2 v[110:111], v84, s[2:3] offset:120
	global_load_dwordx2 v[112:113], v84, s[2:3] offset:240
	;; [unrolled: 1-line block ×15, first 2 shown]
	ds_read2_b64 v[74:77], v89 offset1:15
	ds_read2_b64 v[78:81], v89 offset0:30 offset1:45
	global_load_dwordx2 v[140:141], v84, s[2:3] offset:1920
	ds_read2_b64 v[90:93], v89 offset0:60 offset1:75
	ds_read2_b64 v[94:97], v89 offset0:90 offset1:105
	;; [unrolled: 1-line block ×5, first 2 shown]
	s_waitcnt vmcnt(13) lgkmcnt(5)
	v_mul_f32_e32 v144, v81, v115
	s_waitcnt vmcnt(12) lgkmcnt(4)
	v_mul_f32_e32 v145, v91, v117
	s_waitcnt vmcnt(11)
	v_mul_f32_e32 v146, v93, v119
	s_waitcnt vmcnt(10) lgkmcnt(3)
	v_mul_f32_e32 v147, v95, v121
	s_waitcnt vmcnt(9)
	;; [unrolled: 4-line block ×3, first 2 shown]
	v_mul_f32_e32 v150, v101, v127
	s_waitcnt vmcnt(6) lgkmcnt(1)
	v_mul_f32_e32 v151, v103, v129
	v_mul_f32_e32 v82, v75, v51
	;; [unrolled: 1-line block ×3, first 2 shown]
	v_fma_f32 v142, v74, v50, -v82
	v_fmac_f32_e32 v143, v75, v50
	v_mul_f32_e32 v50, v77, v111
	v_mul_f32_e32 v51, v76, v111
	;; [unrolled: 1-line block ×12, first 2 shown]
	s_waitcnt vmcnt(5)
	v_mul_f32_e32 v129, v105, v131
	v_mul_f32_e32 v125, v104, v131
	v_fma_f32 v50, v76, v110, -v50
	v_fmac_f32_e32 v51, v77, v110
	v_fma_f32 v74, v78, v112, -v74
	v_fmac_f32_e32 v75, v79, v112
	;; [unrolled: 2-line block ×11, first 2 shown]
	ds_write2_b64 v89, v[142:143], v[50:51] offset1:15
	ds_write2_b64 v89, v[74:75], v[110:111] offset0:30 offset1:45
	ds_write2_b64 v89, v[81:82], v[112:113] offset0:60 offset1:75
	;; [unrolled: 1-line block ×5, first 2 shown]
	ds_read2_b64 v[74:77], v89 offset0:210 offset1:225
	s_waitcnt vmcnt(4) lgkmcnt(7)
	v_mul_f32_e32 v131, v107, v133
	v_mul_f32_e32 v127, v106, v133
	s_waitcnt vmcnt(3)
	v_mul_f32_e32 v133, v109, v135
	v_mul_f32_e32 v51, v108, v135
	v_fma_f32 v126, v106, v132, -v131
	v_fmac_f32_e32 v127, v107, v132
	v_fma_f32 v50, v108, v134, -v133
	v_fmac_f32_e32 v51, v109, v134
	ds_write2_b64 v89, v[126:127], v[50:51] offset0:180 offset1:195
	s_waitcnt vmcnt(2) lgkmcnt(1)
	v_mul_f32_e32 v50, v75, v137
	v_mul_f32_e32 v51, v74, v137
	v_fma_f32 v50, v74, v136, -v50
	v_fmac_f32_e32 v51, v75, v136
	ds_read_b64 v[74:75], v89 offset:1920
	s_waitcnt vmcnt(1)
	v_mul_f32_e32 v78, v77, v139
	v_mul_f32_e32 v79, v76, v139
	v_fma_f32 v78, v76, v138, -v78
	v_fmac_f32_e32 v79, v77, v138
	ds_write2_b64 v89, v[50:51], v[78:79] offset0:210 offset1:225
	s_waitcnt vmcnt(0) lgkmcnt(1)
	v_mul_f32_e32 v50, v75, v141
	v_mul_f32_e32 v51, v74, v141
	v_fma_f32 v50, v74, v140, -v50
	v_fmac_f32_e32 v51, v75, v140
	ds_write_b64 v89, v[50:51] offset:1920
.LBB0_9:
	s_or_b64 exec, exec, s[0:1]
	s_waitcnt lgkmcnt(0)
	; wave barrier
	s_waitcnt lgkmcnt(0)
	s_and_saveexec_b64 s[0:1], vcc
	s_cbranch_execz .LBB0_11
; %bb.10:
	ds_read2_b64 v[36:39], v89 offset1:15
	ds_read2_b64 v[52:55], v89 offset0:30 offset1:45
	ds_read2_b64 v[40:43], v89 offset0:60 offset1:75
	ds_read2_b64 v[56:59], v89 offset0:90 offset1:105
	ds_read2_b64 v[60:63], v89 offset0:120 offset1:135
	ds_read2_b64 v[44:47], v89 offset0:150 offset1:165
	ds_read2_b64 v[48:51], v89 offset0:210 offset1:225
	ds_read2_b64 v[64:67], v89 offset0:180 offset1:195
	ds_read_b64 v[69:70], v89 offset:1920
	s_waitcnt lgkmcnt(2)
	v_mov_b32_e32 v71, v50
	v_mov_b32_e32 v72, v51
.LBB0_11:
	s_or_b64 exec, exec, s[0:1]
	v_add_u32_e32 v92, 0x110, v73
	v_add_u32_e32 v91, 0x198, v73
	;; [unrolled: 1-line block ×3, first 2 shown]
	s_waitcnt lgkmcnt(0)
	; wave barrier
	s_waitcnt lgkmcnt(0)
	s_and_saveexec_b64 s[0:1], vcc
	s_cbranch_execz .LBB0_13
; %bb.12:
	v_add_f32_e32 v135, v70, v39
	v_mul_f32_e32 v109, 0xbf7ba420, v135
	v_add_f32_e32 v136, v72, v53
	v_sub_f32_e32 v93, v38, v69
	v_mov_b32_e32 v50, v109
	v_mul_f32_e32 v110, 0x3f6eb680, v136
	v_fmac_f32_e32 v50, 0x3e3c28d5, v93
	v_sub_f32_e32 v94, v52, v71
	v_mov_b32_e32 v51, v110
	v_add_f32_e32 v137, v49, v55
	v_add_f32_e32 v50, v37, v50
	v_fmac_f32_e32 v51, 0xbeb8f4ab, v94
	v_mul_f32_e32 v111, 0xbf59a7d5, v137
	v_add_f32_e32 v50, v51, v50
	v_sub_f32_e32 v95, v54, v48
	v_mov_b32_e32 v51, v111
	v_add_f32_e32 v138, v67, v41
	v_fmac_f32_e32 v51, 0x3f06c442, v95
	v_mul_f32_e32 v112, 0x3f3d2fb0, v138
	v_add_f32_e32 v50, v51, v50
	v_sub_f32_e32 v96, v40, v66
	v_mov_b32_e32 v51, v112
	;; [unrolled: 6-line block ×6, first 2 shown]
	v_sub_f32_e32 v143, v39, v70
	v_fmac_f32_e32 v51, 0xbf7ee86f, v100
	v_mul_f32_e32 v117, 0xbe3c28d5, v143
	v_sub_f32_e32 v144, v53, v72
	v_add_f32_e32 v51, v51, v50
	v_add_f32_e32 v101, v69, v38
	v_mov_b32_e32 v50, v117
	v_mul_f32_e32 v118, 0x3eb8f4ab, v144
	v_fmac_f32_e32 v50, 0xbf7ba420, v101
	v_add_f32_e32 v102, v71, v52
	v_mov_b32_e32 v73, v118
	v_sub_f32_e32 v145, v55, v49
	v_add_f32_e32 v50, v36, v50
	v_fmac_f32_e32 v73, 0x3f6eb680, v102
	v_mul_f32_e32 v119, 0xbf06c442, v145
	v_add_f32_e32 v50, v73, v50
	v_add_f32_e32 v103, v48, v54
	v_mov_b32_e32 v73, v119
	v_sub_f32_e32 v146, v41, v67
	v_fmac_f32_e32 v73, 0xbf59a7d5, v103
	v_mul_f32_e32 v120, 0x3f2c7751, v146
	v_add_f32_e32 v50, v73, v50
	v_add_f32_e32 v104, v66, v40
	v_mov_b32_e32 v73, v120
	v_sub_f32_e32 v147, v43, v65
	;; [unrolled: 6-line block ×5, first 2 shown]
	v_fmac_f32_e32 v73, 0xbe8c1d8e, v107
	v_mul_f32_e32 v124, 0x3f7ee86f, v150
	v_add_f32_e32 v50, v73, v50
	v_add_f32_e32 v108, v62, v60
	v_mov_b32_e32 v73, v124
	v_fmac_f32_e32 v73, 0x3dbcf732, v108
	v_mul_f32_e32 v125, 0xbf59a7d5, v135
	v_add_f32_e32 v50, v73, v50
	v_mov_b32_e32 v73, v125
	v_mul_f32_e32 v126, 0x3ee437d1, v136
	v_fmac_f32_e32 v73, 0x3f06c442, v93
	v_mov_b32_e32 v74, v126
	v_add_f32_e32 v73, v37, v73
	v_fmac_f32_e32 v74, 0xbf65296c, v94
	v_mul_f32_e32 v127, 0x3dbcf732, v137
	v_add_f32_e32 v73, v74, v73
	v_mov_b32_e32 v74, v127
	v_fmac_f32_e32 v74, 0x3f7ee86f, v95
	v_mul_f32_e32 v128, 0xbf1a4643, v138
	v_add_f32_e32 v73, v74, v73
	v_mov_b32_e32 v74, v128
	v_fmac_f32_e32 v74, 0xbf4c4adb, v96
	v_mul_f32_e32 v129, 0x3f6eb680, v139
	v_add_f32_e32 v73, v74, v73
	v_mov_b32_e32 v74, v129
	v_fmac_f32_e32 v74, 0x3eb8f4ab, v97
	v_mul_f32_e32 v130, 0xbf7ba420, v140
	v_add_f32_e32 v73, v74, v73
	v_mov_b32_e32 v74, v130
	v_fmac_f32_e32 v74, 0x3e3c28d5, v98
	v_mul_f32_e32 v131, 0x3f3d2fb0, v141
	v_add_f32_e32 v73, v74, v73
	v_mov_b32_e32 v74, v131
	v_fmac_f32_e32 v74, 0xbf2c7751, v99
	v_mul_f32_e32 v132, 0xbe8c1d8e, v142
	v_add_f32_e32 v73, v74, v73
	v_mov_b32_e32 v74, v132
	v_fmac_f32_e32 v74, 0x3f763a35, v100
	v_mul_f32_e32 v151, 0xbf06c442, v143
	v_add_f32_e32 v74, v74, v73
	v_mov_b32_e32 v73, v151
	v_mul_f32_e32 v152, 0x3f65296c, v144
	v_fmac_f32_e32 v73, 0xbf59a7d5, v101
	v_mov_b32_e32 v75, v152
	v_add_f32_e32 v73, v36, v73
	v_fmac_f32_e32 v75, 0x3ee437d1, v102
	v_mul_f32_e32 v153, 0xbf7ee86f, v145
	v_add_f32_e32 v73, v75, v73
	v_mov_b32_e32 v75, v153
	v_fmac_f32_e32 v75, 0x3dbcf732, v103
	v_mul_f32_e32 v154, 0x3f4c4adb, v146
	v_add_f32_e32 v73, v75, v73
	v_mov_b32_e32 v75, v154
	v_fmac_f32_e32 v75, 0xbf1a4643, v104
	v_mul_f32_e32 v155, 0xbeb8f4ab, v147
	v_add_f32_e32 v73, v75, v73
	v_mov_b32_e32 v75, v155
	v_fmac_f32_e32 v75, 0x3f6eb680, v105
	v_mul_f32_e32 v156, 0xbe3c28d5, v148
	v_add_f32_e32 v73, v75, v73
	v_mov_b32_e32 v75, v156
	v_fmac_f32_e32 v75, 0xbf7ba420, v106
	v_mul_f32_e32 v157, 0x3f2c7751, v149
	v_add_f32_e32 v73, v75, v73
	v_mov_b32_e32 v75, v157
	v_fmac_f32_e32 v75, 0x3f3d2fb0, v107
	v_mul_f32_e32 v158, 0xbf763a35, v150
	;; [unrolled: 32-line block ×6, first 2 shown]
	v_add_f32_e32 v77, v79, v77
	v_mov_b32_e32 v79, v190
	v_fmac_f32_e32 v79, 0xbf1a4643, v108
	v_mul_f32_e32 v191, 0x3dbcf732, v135
	v_add_f32_e32 v77, v79, v77
	v_mov_b32_e32 v79, v191
	v_mul_f32_e32 v192, 0xbf7ba420, v136
	v_fmac_f32_e32 v79, 0x3f7ee86f, v93
	v_mov_b32_e32 v80, v192
	v_add_f32_e32 v79, v37, v79
	v_fmac_f32_e32 v80, 0x3e3c28d5, v94
	v_mul_f32_e32 v193, 0xbe8c1d8e, v137
	v_add_f32_e32 v79, v80, v79
	v_mov_b32_e32 v80, v193
	v_fmac_f32_e32 v80, 0xbf763a35, v95
	v_mul_f32_e32 v194, 0x3f6eb680, v138
	v_add_f32_e32 v79, v80, v79
	v_mov_b32_e32 v80, v194
	;; [unrolled: 4-line block ×4, first 2 shown]
	v_fmac_f32_e32 v80, 0x3f06c442, v98
	v_mul_f32_e32 v197, 0xbf1a4643, v141
	v_add_f32_e32 v38, v38, v36
	v_add_f32_e32 v79, v80, v79
	v_mov_b32_e32 v80, v197
	v_add_f32_e32 v38, v52, v38
	v_fmac_f32_e32 v80, 0xbf4c4adb, v99
	v_mul_f32_e32 v198, 0x3f3d2fb0, v142
	v_add_f32_e32 v38, v54, v38
	v_fmac_f32_e32 v109, 0xbe3c28d5, v93
	v_add_f32_e32 v79, v80, v79
	v_mov_b32_e32 v80, v198
	v_add_f32_e32 v38, v40, v38
	v_add_f32_e32 v40, v37, v109
	v_fmac_f32_e32 v110, 0x3eb8f4ab, v94
	v_fmac_f32_e32 v80, 0xbf2c7751, v100
	v_mul_f32_e32 v199, 0xbf7ee86f, v143
	v_add_f32_e32 v40, v110, v40
	v_fmac_f32_e32 v111, 0xbf06c442, v95
	v_add_f32_e32 v80, v80, v79
	v_mov_b32_e32 v79, v199
	v_mul_f32_e32 v200, 0xbe3c28d5, v144
	v_add_f32_e32 v40, v111, v40
	v_fmac_f32_e32 v112, 0x3f2c7751, v96
	v_fmac_f32_e32 v79, 0x3dbcf732, v101
	v_mov_b32_e32 v81, v200
	v_add_f32_e32 v40, v112, v40
	v_fmac_f32_e32 v113, 0xbf4c4adb, v97
	v_add_f32_e32 v79, v36, v79
	v_fmac_f32_e32 v81, 0xbf7ba420, v102
	v_mul_f32_e32 v201, 0x3f763a35, v145
	v_add_f32_e32 v39, v39, v37
	v_add_f32_e32 v40, v113, v40
	v_fmac_f32_e32 v114, 0x3f65296c, v98
	v_add_f32_e32 v79, v81, v79
	v_mov_b32_e32 v81, v201
	v_add_f32_e32 v39, v53, v39
	v_add_f32_e32 v40, v114, v40
	v_fmac_f32_e32 v115, 0xbf763a35, v99
	s_mov_b32 s2, 0xbf7ba420
	v_fmac_f32_e32 v81, 0xbe8c1d8e, v103
	v_mul_f32_e32 v202, 0x3eb8f4ab, v146
	v_add_f32_e32 v39, v55, v39
	v_add_f32_e32 v40, v115, v40
	v_fmac_f32_e32 v116, 0x3f7ee86f, v100
	s_mov_b32 s8, 0x3f6eb680
	v_add_f32_e32 v79, v81, v79
	v_mov_b32_e32 v81, v202
	v_add_f32_e32 v39, v41, v39
	v_add_f32_e32 v41, v116, v40
	v_fma_f32 v40, v101, s2, -v117
	s_mov_b32 s3, 0xbf59a7d5
	v_fmac_f32_e32 v81, 0x3f6eb680, v104
	v_mul_f32_e32 v203, 0xbf65296c, v147
	v_add_f32_e32 v38, v42, v38
	v_add_f32_e32 v40, v36, v40
	v_fma_f32 v42, v102, s8, -v118
	s_mov_b32 s10, 0x3f3d2fb0
	v_add_f32_e32 v79, v81, v79
	v_mov_b32_e32 v81, v203
	v_add_f32_e32 v40, v42, v40
	v_fma_f32 v42, v103, s3, -v119
	s_mov_b32 s9, 0xbf1a4643
	v_fmac_f32_e32 v81, 0x3ee437d1, v105
	v_mul_f32_e32 v204, 0xbf06c442, v148
	v_add_f32_e32 v40, v42, v40
	v_fma_f32 v42, v104, s10, -v120
	s_mov_b32 s11, 0x3ee437d1
	v_add_f32_e32 v79, v81, v79
	v_mov_b32_e32 v81, v204
	v_add_f32_e32 v40, v42, v40
	v_fma_f32 v42, v105, s9, -v121
	v_fmac_f32_e32 v81, 0xbf59a7d5, v106
	v_mul_f32_e32 v205, 0x3f4c4adb, v149
	v_add_f32_e32 v40, v42, v40
	v_fma_f32 v42, v106, s11, -v122
	s_mov_b32 s17, 0x3dbcf732
	v_add_f32_e32 v79, v81, v79
	v_mov_b32_e32 v81, v205
	v_add_f32_e32 v40, v42, v40
	v_fma_f32 v42, v107, s16, -v123
	v_fmac_f32_e32 v81, 0xbf1a4643, v107
	v_mul_f32_e32 v206, 0x3f2c7751, v150
	v_add_f32_e32 v40, v42, v40
	v_fma_f32 v42, v108, s17, -v124
	v_fmac_f32_e32 v125, 0xbf06c442, v93
	v_add_f32_e32 v79, v81, v79
	v_mov_b32_e32 v81, v206
	v_add_f32_e32 v40, v42, v40
	v_add_f32_e32 v42, v37, v125
	v_fmac_f32_e32 v126, 0x3f65296c, v94
	v_fmac_f32_e32 v81, 0x3f3d2fb0, v108
	v_mul_f32_e32 v207, 0x3ee437d1, v135
	v_add_f32_e32 v42, v126, v42
	v_fmac_f32_e32 v127, 0xbf7ee86f, v95
	v_add_f32_e32 v79, v81, v79
	v_mov_b32_e32 v81, v207
	v_mul_f32_e32 v208, 0xbf1a4643, v136
	v_add_f32_e32 v42, v127, v42
	v_fmac_f32_e32 v128, 0x3f4c4adb, v96
	v_fmac_f32_e32 v81, 0x3f65296c, v93
	v_mov_b32_e32 v82, v208
	v_add_f32_e32 v42, v128, v42
	v_fmac_f32_e32 v129, 0xbeb8f4ab, v97
	v_add_f32_e32 v81, v37, v81
	v_fmac_f32_e32 v82, 0x3f4c4adb, v94
	v_mul_f32_e32 v209, 0xbf7ba420, v137
	v_add_f32_e32 v38, v56, v38
	v_add_f32_e32 v42, v129, v42
	v_fmac_f32_e32 v130, 0xbe3c28d5, v98
	v_add_f32_e32 v81, v82, v81
	v_mov_b32_e32 v82, v209
	v_add_f32_e32 v38, v58, v38
	v_add_f32_e32 v42, v130, v42
	v_fmac_f32_e32 v131, 0x3f2c7751, v99
	v_fmac_f32_e32 v82, 0xbe3c28d5, v95
	v_mul_f32_e32 v210, 0xbe8c1d8e, v138
	v_add_f32_e32 v38, v60, v38
	v_add_f32_e32 v42, v131, v42
	v_fmac_f32_e32 v132, 0xbf763a35, v100
	v_add_f32_e32 v81, v82, v81
	v_mov_b32_e32 v82, v210
	v_add_f32_e32 v39, v43, v39
	v_add_f32_e32 v38, v62, v38
	;; [unrolled: 1-line block ×3, first 2 shown]
	v_fma_f32 v42, v101, s3, -v151
	v_fmac_f32_e32 v82, 0xbf763a35, v96
	v_mul_f32_e32 v211, 0x3f3d2fb0, v139
	v_add_f32_e32 v38, v44, v38
	v_add_f32_e32 v42, v36, v42
	v_fma_f32 v44, v102, s11, -v152
	v_add_f32_e32 v81, v82, v81
	v_mov_b32_e32 v82, v211
	v_add_f32_e32 v42, v44, v42
	v_fma_f32 v44, v103, s17, -v153
	v_fmac_f32_e32 v82, 0xbf2c7751, v97
	v_mul_f32_e32 v212, 0x3f6eb680, v140
	v_add_f32_e32 v42, v44, v42
	v_fma_f32 v44, v104, s9, -v154
	v_add_f32_e32 v81, v82, v81
	v_mov_b32_e32 v82, v212
	v_add_f32_e32 v42, v44, v42
	v_fma_f32 v44, v105, s8, -v155
	v_fmac_f32_e32 v82, 0x3eb8f4ab, v98
	v_mul_f32_e32 v213, 0x3dbcf732, v141
	;; [unrolled: 8-line block ×3, first 2 shown]
	v_add_f32_e32 v42, v44, v42
	v_fma_f32 v44, v108, s16, -v158
	v_fmac_f32_e32 v159, 0xbf4c4adb, v93
	v_add_f32_e32 v81, v82, v81
	v_mov_b32_e32 v82, v214
	v_add_f32_e32 v42, v44, v42
	v_add_f32_e32 v44, v37, v159
	v_fmac_f32_e32 v160, 0x3f763a35, v94
	v_fmac_f32_e32 v82, 0x3f06c442, v100
	v_mul_f32_e32 v215, 0xbf65296c, v143
	v_add_f32_e32 v44, v160, v44
	v_fmac_f32_e32 v161, 0xbeb8f4ab, v95
	v_add_f32_e32 v82, v82, v81
	v_mov_b32_e32 v81, v215
	v_mul_f32_e32 v216, 0xbf4c4adb, v144
	v_add_f32_e32 v44, v161, v44
	v_fmac_f32_e32 v162, 0xbf06c442, v96
	v_fmac_f32_e32 v81, 0x3ee437d1, v101
	v_mov_b32_e32 v133, v216
	v_add_f32_e32 v39, v57, v39
	v_add_f32_e32 v44, v162, v44
	v_fmac_f32_e32 v163, 0x3f7ee86f, v97
	v_add_f32_e32 v81, v36, v81
	v_fmac_f32_e32 v133, 0xbf1a4643, v102
	v_mul_f32_e32 v217, 0x3e3c28d5, v145
	v_add_f32_e32 v39, v59, v39
	v_add_f32_e32 v44, v163, v44
	v_fmac_f32_e32 v164, 0xbf2c7751, v98
	v_add_f32_e32 v81, v133, v81
	v_mov_b32_e32 v133, v217
	v_add_f32_e32 v39, v61, v39
	v_add_f32_e32 v44, v164, v44
	v_fmac_f32_e32 v165, 0xbe3c28d5, v99
	v_fmac_f32_e32 v133, 0xbf7ba420, v103
	v_mul_f32_e32 v218, 0x3f763a35, v146
	v_add_f32_e32 v39, v63, v39
	v_add_f32_e32 v44, v165, v44
	v_fmac_f32_e32 v166, 0x3f65296c, v100
	v_add_f32_e32 v81, v133, v81
	v_mov_b32_e32 v133, v218
	v_add_f32_e32 v39, v45, v39
	v_add_f32_e32 v45, v166, v44
	v_fma_f32 v44, v101, s9, -v167
	v_fmac_f32_e32 v133, 0xbe8c1d8e, v104
	v_mul_f32_e32 v219, 0x3f2c7751, v147
	v_add_f32_e32 v38, v46, v38
	v_add_f32_e32 v44, v36, v44
	v_fma_f32 v46, v102, s16, -v168
	v_add_f32_e32 v81, v133, v81
	v_mov_b32_e32 v133, v219
	v_add_f32_e32 v44, v46, v44
	v_fma_f32 v46, v103, s8, -v169
	v_fmac_f32_e32 v133, 0x3f3d2fb0, v105
	v_mul_f32_e32 v220, 0xbeb8f4ab, v148
	v_add_f32_e32 v44, v46, v44
	v_fma_f32 v46, v104, s3, -v170
	v_add_f32_e32 v81, v133, v81
	v_mov_b32_e32 v133, v220
	v_add_f32_e32 v44, v46, v44
	v_fma_f32 v46, v105, s17, -v171
	v_fmac_f32_e32 v133, 0x3f6eb680, v106
	v_mul_f32_e32 v221, 0xbf7ee86f, v149
	;; [unrolled: 8-line block ×3, first 2 shown]
	v_add_f32_e32 v44, v46, v44
	v_fma_f32 v46, v108, s11, -v174
	v_fmac_f32_e32 v175, 0xbf763a35, v93
	v_add_f32_e32 v81, v133, v81
	v_mov_b32_e32 v133, v222
	v_add_f32_e32 v44, v46, v44
	v_add_f32_e32 v46, v37, v175
	v_fmac_f32_e32 v176, 0x3f06c442, v94
	v_fmac_f32_e32 v133, 0xbf59a7d5, v108
	v_mul_f32_e32 v223, 0x3f3d2fb0, v135
	v_add_f32_e32 v46, v176, v46
	v_fmac_f32_e32 v177, 0x3f2c7751, v95
	v_add_f32_e32 v81, v133, v81
	v_mov_b32_e32 v133, v223
	v_mul_f32_e32 v224, 0x3dbcf732, v136
	v_add_f32_e32 v46, v177, v46
	v_fmac_f32_e32 v178, 0xbf65296c, v96
	v_fmac_f32_e32 v133, 0x3f2c7751, v93
	v_mov_b32_e32 v134, v224
	v_add_f32_e32 v46, v178, v46
	v_fmac_f32_e32 v179, 0xbe3c28d5, v97
	v_add_f32_e32 v133, v37, v133
	v_fmac_f32_e32 v134, 0x3f7ee86f, v94
	v_mul_f32_e32 v225, 0xbf1a4643, v137
	v_add_f32_e32 v46, v179, v46
	v_fmac_f32_e32 v180, 0x3f7ee86f, v98
	v_add_f32_e32 v133, v134, v133
	v_mov_b32_e32 v134, v225
	v_add_f32_e32 v46, v180, v46
	v_fmac_f32_e32 v181, 0xbeb8f4ab, v99
	v_fmac_f32_e32 v134, 0x3f4c4adb, v95
	v_mul_f32_e32 v226, 0xbf7ba420, v138
	v_add_f32_e32 v38, v64, v38
	v_add_f32_e32 v46, v181, v46
	v_fmac_f32_e32 v182, 0xbf4c4adb, v100
	v_add_f32_e32 v133, v134, v133
	v_mov_b32_e32 v134, v226
	v_add_f32_e32 v39, v47, v39
	v_add_f32_e32 v38, v66, v38
	;; [unrolled: 1-line block ×3, first 2 shown]
	v_fma_f32 v46, v101, s16, -v183
	v_fmac_f32_e32 v134, 0x3e3c28d5, v96
	v_mul_f32_e32 v227, 0xbf59a7d5, v139
	v_add_f32_e32 v38, v48, v38
	v_add_f32_e32 v46, v36, v46
	v_fma_f32 v48, v102, s3, -v184
	v_add_f32_e32 v133, v134, v133
	v_mov_b32_e32 v134, v227
	v_add_f32_e32 v46, v48, v46
	v_fma_f32 v48, v103, s10, -v185
	v_fmac_f32_e32 v134, 0xbf06c442, v97
	v_mul_f32_e32 v228, 0xbe8c1d8e, v140
	v_add_f32_e32 v46, v48, v46
	v_fma_f32 v48, v104, s11, -v186
	v_add_f32_e32 v133, v134, v133
	v_mov_b32_e32 v134, v228
	v_add_f32_e32 v46, v48, v46
	v_fma_f32 v48, v105, s2, -v187
	v_fmac_f32_e32 v134, 0xbf763a35, v98
	v_mul_f32_e32 v229, 0x3ee437d1, v141
	;; [unrolled: 8-line block ×3, first 2 shown]
	v_add_f32_e32 v46, v48, v46
	v_fma_f32 v48, v108, s9, -v190
	v_fmac_f32_e32 v191, 0xbf7ee86f, v93
	v_add_f32_e32 v133, v134, v133
	v_mov_b32_e32 v134, v230
	v_add_f32_e32 v46, v48, v46
	v_add_f32_e32 v48, v37, v191
	v_fmac_f32_e32 v192, 0xbe3c28d5, v94
	v_fmac_f32_e32 v134, 0xbeb8f4ab, v100
	v_mul_f32_e32 v231, 0xbf2c7751, v143
	v_add_f32_e32 v48, v192, v48
	v_fmac_f32_e32 v193, 0x3f763a35, v95
	v_add_f32_e32 v134, v134, v133
	v_mov_b32_e32 v133, v231
	v_mul_f32_e32 v232, 0xbf7ee86f, v144
	v_add_f32_e32 v48, v193, v48
	v_fmac_f32_e32 v194, 0x3eb8f4ab, v96
	v_fmac_f32_e32 v133, 0x3f3d2fb0, v101
	v_mov_b32_e32 v233, v232
	v_add_f32_e32 v48, v194, v48
	v_fmac_f32_e32 v195, 0xbf65296c, v97
	v_add_f32_e32 v133, v36, v133
	v_fmac_f32_e32 v233, 0x3dbcf732, v102
	;; [unrolled: 2-line block ×3, first 2 shown]
	v_add_f32_e32 v133, v233, v133
	v_mul_f32_e32 v233, 0xbf4c4adb, v145
	v_add_f32_e32 v39, v65, v39
	v_add_f32_e32 v48, v196, v48
	v_fmac_f32_e32 v197, 0x3f4c4adb, v99
	v_mov_b32_e32 v234, v233
	v_add_f32_e32 v39, v67, v39
	v_add_f32_e32 v48, v197, v48
	v_fmac_f32_e32 v198, 0x3f2c7751, v100
	v_fmac_f32_e32 v234, 0xbf1a4643, v103
	v_add_f32_e32 v39, v49, v39
	v_add_f32_e32 v49, v198, v48
	v_fma_f32 v48, v101, s17, -v199
	v_add_f32_e32 v133, v234, v133
	v_mul_f32_e32 v234, 0xbe3c28d5, v146
	v_add_f32_e32 v48, v36, v48
	v_fma_f32 v52, v102, s2, -v200
	v_mov_b32_e32 v235, v234
	v_add_f32_e32 v48, v52, v48
	v_fma_f32 v52, v103, s16, -v201
	v_fmac_f32_e32 v235, 0xbf7ba420, v104
	v_add_f32_e32 v48, v52, v48
	v_fma_f32 v52, v104, s8, -v202
	v_add_f32_e32 v133, v235, v133
	v_mul_f32_e32 v235, 0x3f06c442, v147
	v_add_f32_e32 v48, v52, v48
	v_fma_f32 v52, v105, s11, -v203
	v_mov_b32_e32 v236, v235
	v_add_f32_e32 v48, v52, v48
	v_fma_f32 v52, v106, s3, -v204
	v_fmac_f32_e32 v236, 0xbf59a7d5, v105
	v_add_f32_e32 v48, v52, v48
	v_fma_f32 v52, v107, s9, -v205
	v_add_f32_e32 v133, v236, v133
	v_mul_f32_e32 v236, 0x3f763a35, v148
	v_add_f32_e32 v48, v52, v48
	v_fma_f32 v52, v108, s10, -v206
	v_fmac_f32_e32 v207, 0xbf65296c, v93
	v_mov_b32_e32 v237, v236
	v_add_f32_e32 v48, v52, v48
	v_add_f32_e32 v52, v37, v207
	v_fmac_f32_e32 v208, 0xbf4c4adb, v94
	v_fmac_f32_e32 v237, 0xbe8c1d8e, v106
	v_add_f32_e32 v52, v208, v52
	v_fmac_f32_e32 v209, 0x3e3c28d5, v95
	v_add_f32_e32 v133, v237, v133
	v_mul_f32_e32 v237, 0x3f65296c, v149
	v_add_f32_e32 v52, v209, v52
	v_fmac_f32_e32 v210, 0x3f763a35, v96
	v_mov_b32_e32 v238, v237
	v_add_f32_e32 v52, v210, v52
	v_fmac_f32_e32 v211, 0x3f2c7751, v97
	v_fmac_f32_e32 v238, 0x3ee437d1, v107
	v_add_f32_e32 v52, v211, v52
	v_fmac_f32_e32 v212, 0xbeb8f4ab, v98
	v_add_f32_e32 v133, v238, v133
	v_mul_f32_e32 v238, 0x3eb8f4ab, v150
	v_add_f32_e32 v52, v212, v52
	v_fmac_f32_e32 v213, 0xbf7ee86f, v99
	v_mov_b32_e32 v239, v238
	v_add_f32_e32 v52, v213, v52
	v_fmac_f32_e32 v214, 0xbf06c442, v100
	v_fmac_f32_e32 v239, 0x3f6eb680, v108
	v_add_f32_e32 v53, v214, v52
	v_fma_f32 v52, v101, s11, -v215
	v_add_f32_e32 v133, v239, v133
	v_mul_f32_e32 v239, 0x3f6eb680, v135
	v_add_f32_e32 v52, v36, v52
	v_fma_f32 v54, v102, s9, -v216
	v_mov_b32_e32 v135, v239
	v_mul_f32_e32 v240, 0x3f3d2fb0, v136
	v_add_f32_e32 v52, v54, v52
	v_fma_f32 v54, v103, s2, -v217
	v_fmac_f32_e32 v135, 0x3eb8f4ab, v93
	v_mov_b32_e32 v136, v240
	v_add_f32_e32 v52, v54, v52
	v_fma_f32 v54, v104, s16, -v218
	v_add_f32_e32 v135, v37, v135
	v_fmac_f32_e32 v136, 0x3f2c7751, v94
	v_mul_f32_e32 v137, 0x3ee437d1, v137
	v_add_f32_e32 v52, v54, v52
	v_fma_f32 v54, v105, s10, -v219
	v_add_f32_e32 v135, v136, v135
	v_mov_b32_e32 v136, v137
	v_add_f32_e32 v52, v54, v52
	v_fma_f32 v54, v106, s8, -v220
	v_fmac_f32_e32 v136, 0x3f65296c, v95
	v_mul_f32_e32 v138, 0x3dbcf732, v138
	v_add_f32_e32 v52, v54, v52
	v_fma_f32 v54, v107, s17, -v221
	v_add_f32_e32 v135, v136, v135
	v_mov_b32_e32 v136, v138
	v_add_f32_e32 v52, v54, v52
	v_fma_f32 v54, v108, s3, -v222
	v_fmac_f32_e32 v223, 0xbf2c7751, v93
	v_fmac_f32_e32 v136, 0x3f7ee86f, v96
	v_mul_f32_e32 v139, 0xbe8c1d8e, v139
	v_add_f32_e32 v52, v54, v52
	v_add_f32_e32 v54, v37, v223
	v_fmac_f32_e32 v224, 0xbf7ee86f, v94
	v_add_f32_e32 v135, v136, v135
	v_mov_b32_e32 v136, v139
	v_add_f32_e32 v54, v224, v54
	v_fmac_f32_e32 v225, 0xbf4c4adb, v95
	v_fmac_f32_e32 v136, 0x3f763a35, v97
	v_mul_f32_e32 v140, 0xbf1a4643, v140
	v_add_f32_e32 v54, v225, v54
	v_fmac_f32_e32 v226, 0xbe3c28d5, v96
	v_add_f32_e32 v135, v136, v135
	v_mov_b32_e32 v136, v140
	v_add_f32_e32 v54, v226, v54
	v_fmac_f32_e32 v227, 0x3f06c442, v97
	v_fmac_f32_e32 v136, 0x3f4c4adb, v98
	v_mul_f32_e32 v141, 0xbf59a7d5, v141
	;; [unrolled: 8-line block ×3, first 2 shown]
	v_add_f32_e32 v54, v229, v54
	v_fmac_f32_e32 v230, 0x3eb8f4ab, v100
	v_add_f32_e32 v135, v136, v135
	v_mov_b32_e32 v136, v142
	v_add_f32_e32 v55, v230, v54
	v_fma_f32 v54, v101, s10, -v231
	v_fmac_f32_e32 v136, 0x3e3c28d5, v100
	v_mul_f32_e32 v143, 0xbeb8f4ab, v143
	v_add_f32_e32 v54, v36, v54
	v_fma_f32 v56, v102, s17, -v232
	v_add_f32_e32 v136, v136, v135
	v_mov_b32_e32 v135, v143
	v_mul_f32_e32 v144, 0xbf2c7751, v144
	v_add_f32_e32 v54, v56, v54
	v_fma_f32 v56, v103, s9, -v233
	v_fmac_f32_e32 v135, 0x3f6eb680, v101
	v_mov_b32_e32 v241, v144
	v_add_f32_e32 v54, v56, v54
	v_fma_f32 v56, v104, s2, -v234
	v_add_f32_e32 v135, v36, v135
	v_fmac_f32_e32 v241, 0x3f3d2fb0, v102
	v_mul_f32_e32 v145, 0xbf65296c, v145
	v_add_f32_e32 v54, v56, v54
	v_fma_f32 v56, v105, s3, -v235
	v_add_f32_e32 v135, v241, v135
	v_mov_b32_e32 v241, v145
	v_add_f32_e32 v54, v56, v54
	v_fma_f32 v56, v106, s16, -v236
	v_fmac_f32_e32 v241, 0x3ee437d1, v103
	v_mul_f32_e32 v146, 0xbf7ee86f, v146
	v_add_f32_e32 v54, v56, v54
	v_fma_f32 v56, v107, s11, -v237
	v_add_f32_e32 v135, v241, v135
	v_mov_b32_e32 v241, v146
	v_add_f32_e32 v54, v56, v54
	v_fma_f32 v56, v108, s8, -v238
	;; [unrolled: 8-line block ×3, first 2 shown]
	v_fmac_f32_e32 v241, 0xbe8c1d8e, v105
	v_mul_f32_e32 v148, 0xbf4c4adb, v148
	v_fmac_f32_e32 v239, 0xbeb8f4ab, v93
	v_add_f32_e32 v36, v56, v36
	v_fma_f32 v56, v103, s11, -v145
	v_add_f32_e32 v135, v241, v135
	v_mov_b32_e32 v241, v148
	v_add_f32_e32 v37, v37, v239
	v_fmac_f32_e32 v240, 0xbf2c7751, v94
	v_add_f32_e32 v36, v56, v36
	v_fma_f32 v56, v104, s17, -v146
	v_fmac_f32_e32 v241, 0xbf1a4643, v106
	v_mul_f32_e32 v149, 0xbf06c442, v149
	v_add_f32_e32 v37, v240, v37
	v_fmac_f32_e32 v137, 0xbf65296c, v95
	v_add_f32_e32 v36, v56, v36
	v_fma_f32 v56, v105, s16, -v147
	v_add_f32_e32 v135, v241, v135
	v_mov_b32_e32 v241, v149
	v_add_f32_e32 v37, v137, v37
	v_fmac_f32_e32 v138, 0xbf7ee86f, v96
	v_add_f32_e32 v36, v56, v36
	v_fma_f32 v56, v106, s9, -v148
	v_fmac_f32_e32 v241, 0xbf59a7d5, v107
	v_mul_f32_e32 v150, 0xbe3c28d5, v150
	v_add_f32_e32 v37, v138, v37
	v_fmac_f32_e32 v139, 0xbf763a35, v97
	v_add_f32_e32 v36, v56, v36
	v_fma_f32 v56, v107, s3, -v149
	v_add_f32_e32 v135, v241, v135
	v_mov_b32_e32 v241, v150
	v_add_f32_e32 v37, v139, v37
	v_fmac_f32_e32 v140, 0xbf4c4adb, v98
	v_add_f32_e32 v36, v56, v36
	v_fma_f32 v56, v108, s2, -v150
	v_fmac_f32_e32 v241, 0xbf7ba420, v108
	v_add_f32_e32 v39, v72, v39
	v_add_f32_e32 v38, v71, v38
	;; [unrolled: 1-line block ×3, first 2 shown]
	v_fmac_f32_e32 v141, 0xbf06c442, v99
	v_add_f32_e32 v36, v56, v36
	v_mul_lo_u16_e32 v56, 17, v83
	v_add_f32_e32 v135, v241, v135
	v_add_f32_e32 v39, v70, v39
	;; [unrolled: 1-line block ×4, first 2 shown]
	v_fmac_f32_e32 v142, 0xbe3c28d5, v100
	v_lshl_add_u32 v56, v56, 3, v86
	v_add_f32_e32 v37, v142, v37
	ds_write2_b64 v56, v[38:39], v[135:136] offset1:1
	ds_write2_b64 v56, v[133:134], v[81:82] offset0:2 offset1:3
	ds_write2_b64 v56, v[79:80], v[77:78] offset0:4 offset1:5
	;; [unrolled: 1-line block ×7, first 2 shown]
	ds_write_b64 v56, v[36:37] offset:128
.LBB0_13:
	s_or_b64 exec, exec, s[0:1]
	s_waitcnt lgkmcnt(0)
	; wave barrier
	s_waitcnt lgkmcnt(0)
	ds_read2_b64 v[36:39], v87 offset1:17
	ds_read2_b64 v[40:43], v87 offset0:34 offset1:51
	ds_read2_b64 v[44:47], v87 offset0:102 offset1:119
	;; [unrolled: 1-line block ×6, first 2 shown]
	ds_read_b64 v[64:65], v87 offset:1904
	s_waitcnt lgkmcnt(6)
	v_mul_f32_e32 v66, v5, v43
	v_fmac_f32_e32 v66, v4, v42
	v_mul_f32_e32 v42, v5, v42
	v_fma_f32 v42, v4, v43, -v42
	s_waitcnt lgkmcnt(5)
	v_mul_f32_e32 v43, v7, v45
	v_fmac_f32_e32 v43, v6, v44
	v_mul_f32_e32 v44, v7, v44
	v_fma_f32 v44, v6, v45, -v44
	s_waitcnt lgkmcnt(4)
	v_mul_f32_e32 v45, v1, v51
	v_fmac_f32_e32 v45, v0, v50
	v_mul_f32_e32 v50, v1, v50
	v_fma_f32 v50, v0, v51, -v50
	s_waitcnt lgkmcnt(3)
	v_mul_f32_e32 v51, v3, v53
	v_fmac_f32_e32 v51, v2, v52
	v_mul_f32_e32 v52, v3, v52
	v_fma_f32 v52, v2, v53, -v52
	s_waitcnt lgkmcnt(2)
	v_mul_f32_e32 v53, v5, v57
	v_mul_f32_e32 v5, v5, v56
	v_fmac_f32_e32 v53, v4, v56
	v_fma_f32 v56, v4, v57, -v5
	v_mul_f32_e32 v57, v7, v47
	v_mul_f32_e32 v4, v7, v46
	v_fmac_f32_e32 v57, v6, v46
	v_fma_f32 v46, v6, v47, -v4
	s_waitcnt lgkmcnt(1)
	v_mul_f32_e32 v47, v1, v61
	v_mul_f32_e32 v1, v1, v60
	v_fmac_f32_e32 v47, v0, v60
	v_fma_f32 v60, v0, v61, -v1
	v_mul_f32_e32 v61, v3, v55
	v_mul_f32_e32 v0, v3, v54
	v_add_f32_e32 v1, v43, v45
	v_fmac_f32_e32 v61, v2, v54
	v_fma_f32 v54, v2, v55, -v0
	v_fma_f32 v2, -0.5, v1, v36
	v_sub_f32_e32 v1, v42, v52
	v_mov_b32_e32 v4, v2
	v_fmac_f32_e32 v4, 0xbf737871, v1
	v_sub_f32_e32 v3, v44, v50
	v_sub_f32_e32 v5, v66, v43
	;; [unrolled: 1-line block ×3, first 2 shown]
	v_fmac_f32_e32 v2, 0x3f737871, v1
	v_mul_f32_e32 v55, v13, v59
	v_mul_f32_e32 v0, v13, v58
	v_fmac_f32_e32 v4, 0xbf167918, v3
	v_add_f32_e32 v5, v5, v6
	v_fmac_f32_e32 v2, 0x3f167918, v3
	v_fmac_f32_e32 v55, v12, v58
	v_fma_f32 v58, v12, v59, -v0
	v_mul_f32_e32 v0, v15, v48
	v_fmac_f32_e32 v4, 0x3e9e377a, v5
	v_fmac_f32_e32 v2, 0x3e9e377a, v5
	v_add_f32_e32 v5, v66, v51
	v_mul_f32_e32 v59, v15, v49
	v_fma_f32 v67, v14, v49, -v0
	v_mul_f32_e32 v49, v9, v63
	v_mul_f32_e32 v0, v9, v62
	v_fma_f32 v6, -0.5, v5, v36
	v_fmac_f32_e32 v49, v8, v62
	v_fma_f32 v62, v8, v63, -v0
	v_mov_b32_e32 v8, v6
	v_fmac_f32_e32 v8, 0x3f737871, v3
	v_sub_f32_e32 v5, v43, v66
	v_sub_f32_e32 v7, v45, v51
	v_fmac_f32_e32 v6, 0xbf737871, v3
	v_add_f32_e32 v3, v44, v50
	s_waitcnt lgkmcnt(0)
	v_mul_f32_e32 v63, v11, v65
	v_mul_f32_e32 v0, v11, v64
	v_fmac_f32_e32 v8, 0xbf167918, v1
	v_add_f32_e32 v5, v5, v7
	v_fmac_f32_e32 v6, 0x3f167918, v1
	v_fma_f32 v3, -0.5, v3, v37
	v_fmac_f32_e32 v63, v10, v64
	v_fma_f32 v64, v10, v65, -v0
	v_fmac_f32_e32 v8, 0x3e9e377a, v5
	v_fmac_f32_e32 v6, 0x3e9e377a, v5
	v_sub_f32_e32 v10, v66, v51
	v_mov_b32_e32 v5, v3
	v_fmac_f32_e32 v5, 0x3f737871, v10
	v_sub_f32_e32 v11, v43, v45
	v_sub_f32_e32 v7, v42, v44
	;; [unrolled: 1-line block ×3, first 2 shown]
	v_fmac_f32_e32 v3, 0xbf737871, v10
	v_fmac_f32_e32 v5, 0x3f167918, v11
	v_add_f32_e32 v7, v7, v9
	v_fmac_f32_e32 v3, 0xbf167918, v11
	v_fmac_f32_e32 v5, 0x3e9e377a, v7
	;; [unrolled: 1-line block ×3, first 2 shown]
	v_add_f32_e32 v7, v42, v52
	v_fma_f32 v7, -0.5, v7, v37
	v_mov_b32_e32 v9, v7
	v_fmac_f32_e32 v9, 0xbf737871, v11
	v_sub_f32_e32 v12, v44, v42
	v_sub_f32_e32 v13, v50, v52
	v_fmac_f32_e32 v7, 0x3f737871, v11
	v_fmac_f32_e32 v9, 0x3f167918, v10
	v_add_f32_e32 v12, v12, v13
	v_fmac_f32_e32 v7, 0xbf167918, v10
	v_add_f32_e32 v11, v57, v47
	v_fmac_f32_e32 v9, 0x3e9e377a, v12
	v_fmac_f32_e32 v7, 0x3e9e377a, v12
	v_fma_f32 v12, -0.5, v11, v38
	v_fmac_f32_e32 v59, v14, v48
	v_sub_f32_e32 v11, v56, v54
	v_mov_b32_e32 v14, v12
	v_add_f32_e32 v0, v36, v66
	v_fmac_f32_e32 v14, 0xbf737871, v11
	v_sub_f32_e32 v13, v46, v60
	v_sub_f32_e32 v15, v53, v57
	;; [unrolled: 1-line block ×3, first 2 shown]
	v_fmac_f32_e32 v12, 0x3f737871, v11
	v_fmac_f32_e32 v14, 0xbf167918, v13
	v_add_f32_e32 v15, v15, v36
	v_fmac_f32_e32 v12, 0x3f167918, v13
	v_fmac_f32_e32 v14, 0x3e9e377a, v15
	;; [unrolled: 1-line block ×3, first 2 shown]
	v_add_f32_e32 v15, v53, v61
	v_add_f32_e32 v10, v38, v53
	v_fma_f32 v38, -0.5, v15, v38
	v_mov_b32_e32 v36, v38
	v_add_f32_e32 v1, v37, v42
	v_fmac_f32_e32 v36, 0x3f737871, v13
	v_sub_f32_e32 v15, v57, v53
	v_sub_f32_e32 v37, v47, v61
	v_fmac_f32_e32 v38, 0xbf737871, v13
	v_add_f32_e32 v13, v46, v60
	v_fmac_f32_e32 v36, 0xbf167918, v11
	v_add_f32_e32 v15, v15, v37
	v_fmac_f32_e32 v38, 0x3f167918, v11
	v_fma_f32 v13, -0.5, v13, v39
	v_fmac_f32_e32 v36, 0x3e9e377a, v15
	v_fmac_f32_e32 v38, 0x3e9e377a, v15
	v_sub_f32_e32 v42, v53, v61
	v_mov_b32_e32 v15, v13
	v_add_f32_e32 v0, v0, v43
	v_add_f32_e32 v1, v1, v44
	v_fmac_f32_e32 v15, 0x3f737871, v42
	v_sub_f32_e32 v43, v57, v47
	v_sub_f32_e32 v37, v56, v46
	;; [unrolled: 1-line block ×3, first 2 shown]
	v_fmac_f32_e32 v13, 0xbf737871, v42
	v_fmac_f32_e32 v15, 0x3f167918, v43
	v_add_f32_e32 v37, v37, v44
	v_fmac_f32_e32 v13, 0xbf167918, v43
	v_fmac_f32_e32 v15, 0x3e9e377a, v37
	;; [unrolled: 1-line block ×3, first 2 shown]
	v_add_f32_e32 v37, v56, v54
	v_add_f32_e32 v11, v39, v56
	v_fmac_f32_e32 v39, -0.5, v37
	v_mov_b32_e32 v37, v39
	v_add_f32_e32 v0, v0, v45
	v_fmac_f32_e32 v37, 0xbf737871, v43
	v_sub_f32_e32 v44, v46, v56
	v_sub_f32_e32 v45, v60, v54
	v_fmac_f32_e32 v39, 0x3f737871, v43
	v_fmac_f32_e32 v37, 0x3f167918, v42
	v_add_f32_e32 v44, v44, v45
	v_fmac_f32_e32 v39, 0xbf167918, v42
	v_add_f32_e32 v43, v59, v49
	v_fmac_f32_e32 v37, 0x3e9e377a, v44
	v_fmac_f32_e32 v39, 0x3e9e377a, v44
	v_fma_f32 v44, -0.5, v43, v40
	v_add_f32_e32 v10, v10, v57
	v_add_f32_e32 v11, v11, v46
	v_sub_f32_e32 v43, v58, v64
	v_mov_b32_e32 v46, v44
	v_add_f32_e32 v10, v10, v47
	v_fmac_f32_e32 v46, 0xbf737871, v43
	v_sub_f32_e32 v45, v67, v62
	v_sub_f32_e32 v47, v55, v59
	;; [unrolled: 1-line block ×3, first 2 shown]
	v_fmac_f32_e32 v44, 0x3f737871, v43
	v_fmac_f32_e32 v46, 0xbf167918, v45
	v_add_f32_e32 v47, v47, v48
	v_fmac_f32_e32 v44, 0x3f167918, v45
	v_fmac_f32_e32 v46, 0x3e9e377a, v47
	;; [unrolled: 1-line block ×3, first 2 shown]
	v_add_f32_e32 v47, v55, v63
	v_add_f32_e32 v42, v40, v55
	v_fma_f32 v40, -0.5, v47, v40
	v_mov_b32_e32 v48, v40
	v_add_f32_e32 v1, v1, v50
	v_fmac_f32_e32 v48, 0x3f737871, v45
	v_sub_f32_e32 v47, v59, v55
	v_sub_f32_e32 v50, v49, v63
	v_fmac_f32_e32 v40, 0xbf737871, v45
	v_add_f32_e32 v45, v67, v62
	v_fmac_f32_e32 v48, 0xbf167918, v43
	v_add_f32_e32 v47, v47, v50
	v_fmac_f32_e32 v40, 0x3f167918, v43
	v_fma_f32 v45, -0.5, v45, v41
	v_add_f32_e32 v42, v42, v59
	v_fmac_f32_e32 v48, 0x3e9e377a, v47
	v_fmac_f32_e32 v40, 0x3e9e377a, v47
	v_sub_f32_e32 v50, v55, v63
	v_mov_b32_e32 v47, v45
	v_add_f32_e32 v0, v0, v51
	v_add_f32_e32 v1, v1, v52
	;; [unrolled: 1-line block ×3, first 2 shown]
	v_fmac_f32_e32 v47, 0x3f737871, v50
	v_sub_f32_e32 v51, v59, v49
	v_sub_f32_e32 v49, v58, v67
	;; [unrolled: 1-line block ×3, first 2 shown]
	v_fmac_f32_e32 v45, 0xbf737871, v50
	v_fmac_f32_e32 v47, 0x3f167918, v51
	v_add_f32_e32 v49, v49, v52
	v_fmac_f32_e32 v45, 0xbf167918, v51
	v_fmac_f32_e32 v47, 0x3e9e377a, v49
	;; [unrolled: 1-line block ×3, first 2 shown]
	v_add_f32_e32 v49, v58, v64
	v_add_f32_e32 v43, v41, v58
	v_fmac_f32_e32 v41, -0.5, v49
	v_mov_b32_e32 v49, v41
	v_add_f32_e32 v43, v43, v67
	v_fmac_f32_e32 v49, 0xbf737871, v51
	v_sub_f32_e32 v52, v67, v58
	v_sub_f32_e32 v53, v62, v64
	v_fmac_f32_e32 v41, 0x3f737871, v51
	v_add_f32_e32 v11, v11, v60
	v_add_f32_e32 v43, v43, v62
	v_fmac_f32_e32 v49, 0x3f167918, v50
	v_add_f32_e32 v52, v52, v53
	v_fmac_f32_e32 v41, 0xbf167918, v50
	v_add_f32_e32 v10, v10, v61
	v_add_f32_e32 v11, v11, v54
	;; [unrolled: 1-line block ×4, first 2 shown]
	v_fmac_f32_e32 v49, 0x3e9e377a, v52
	v_fmac_f32_e32 v41, 0x3e9e377a, v52
	s_waitcnt lgkmcnt(0)
	; wave barrier
	ds_write2_b64 v87, v[0:1], v[4:5] offset1:17
	ds_write2_b64 v87, v[8:9], v[6:7] offset0:34 offset1:51
	ds_write2_b64 v87, v[2:3], v[10:11] offset0:68 offset1:85
	;; [unrolled: 1-line block ×6, first 2 shown]
	ds_write_b64 v88, v[44:45] offset:1904
	s_waitcnt lgkmcnt(0)
	; wave barrier
	s_waitcnt lgkmcnt(0)
	ds_read2_b64 v[0:3], v87 offset1:17
	ds_read2_b64 v[4:7], v87 offset0:68 offset1:85
	ds_read2_b64 v[8:11], v87 offset0:170 offset1:187
	;; [unrolled: 1-line block ×6, first 2 shown]
	ds_read_b64 v[48:49], v87 offset:1904
	s_waitcnt lgkmcnt(6)
	v_mul_f32_e32 v50, v17, v7
	v_fmac_f32_e32 v50, v16, v6
	v_mul_f32_e32 v6, v17, v6
	v_fma_f32 v16, v16, v7, -v6
	s_waitcnt lgkmcnt(5)
	v_mul_f32_e32 v6, v19, v8
	v_mul_f32_e32 v17, v19, v9
	v_fma_f32 v9, v18, v9, -v6
	s_waitcnt lgkmcnt(4)
	v_mul_f32_e32 v6, v21, v12
	v_fmac_f32_e32 v17, v18, v8
	v_mul_f32_e32 v18, v21, v13
	v_fma_f32 v13, v20, v13, -v6
	v_mul_f32_e32 v6, v23, v10
	v_fmac_f32_e32 v18, v20, v12
	v_mul_f32_e32 v19, v23, v11
	v_fma_f32 v20, v22, v11, -v6
	;; [unrolled: 4-line block ×3, first 2 shown]
	s_waitcnt lgkmcnt(2)
	v_mul_f32_e32 v6, v27, v40
	v_fmac_f32_e32 v21, v24, v14
	v_mul_f32_e32 v23, v27, v41
	v_fma_f32 v24, v26, v41, -v6
	s_waitcnt lgkmcnt(1)
	v_mul_f32_e32 v6, v29, v44
	v_fmac_f32_e32 v23, v26, v40
	v_mul_f32_e32 v25, v29, v45
	v_fma_f32 v26, v28, v45, -v6
	v_mul_f32_e32 v6, v31, v42
	v_fmac_f32_e32 v25, v28, v44
	v_mul_f32_e32 v27, v31, v43
	v_fma_f32 v28, v30, v43, -v6
	;; [unrolled: 4-line block ×3, first 2 shown]
	s_waitcnt lgkmcnt(0)
	v_mul_f32_e32 v6, v35, v48
	v_add_f32_e32 v7, v50, v17
	v_fmac_f32_e32 v29, v32, v46
	v_fma_f32 v32, v34, v49, -v6
	v_add_f32_e32 v6, v0, v50
	v_fma_f32 v0, -0.5, v7, v0
	v_sub_f32_e32 v7, v16, v9
	v_mov_b32_e32 v8, v0
	v_fmac_f32_e32 v8, 0xbf5db3d7, v7
	v_fmac_f32_e32 v0, 0x3f5db3d7, v7
	v_add_f32_e32 v7, v1, v16
	v_add_f32_e32 v7, v7, v9
	;; [unrolled: 1-line block ×3, first 2 shown]
	v_fma_f32 v1, -0.5, v9, v1
	v_sub_f32_e32 v10, v50, v17
	v_mov_b32_e32 v9, v1
	v_add_f32_e32 v11, v18, v19
	v_fmac_f32_e32 v9, 0x3f5db3d7, v10
	v_fmac_f32_e32 v1, 0xbf5db3d7, v10
	v_add_f32_e32 v10, v2, v18
	v_fma_f32 v2, -0.5, v11, v2
	v_sub_f32_e32 v11, v13, v20
	v_mov_b32_e32 v12, v2
	v_fmac_f32_e32 v12, 0xbf5db3d7, v11
	v_fmac_f32_e32 v2, 0x3f5db3d7, v11
	v_add_f32_e32 v11, v3, v13
	v_add_f32_e32 v13, v13, v20
	;; [unrolled: 1-line block ×3, first 2 shown]
	v_fmac_f32_e32 v3, -0.5, v13
	v_add_f32_e32 v17, v22, v24
	v_sub_f32_e32 v14, v18, v19
	v_mov_b32_e32 v13, v3
	v_add_f32_e32 v15, v21, v23
	v_fma_f32 v17, -0.5, v17, v37
	v_add_f32_e32 v10, v10, v19
	v_add_f32_e32 v11, v11, v20
	v_fmac_f32_e32 v13, 0x3f5db3d7, v14
	v_fmac_f32_e32 v3, 0xbf5db3d7, v14
	v_add_f32_e32 v14, v36, v21
	v_fma_f32 v16, -0.5, v15, v36
	v_sub_f32_e32 v20, v21, v23
	v_mov_b32_e32 v19, v17
	v_add_f32_e32 v21, v25, v27
	v_sub_f32_e32 v15, v22, v24
	v_mov_b32_e32 v18, v16
	v_fmac_f32_e32 v19, 0x3f5db3d7, v20
	v_fmac_f32_e32 v17, 0xbf5db3d7, v20
	v_add_f32_e32 v20, v38, v25
	v_fma_f32 v38, -0.5, v21, v38
	v_mul_f32_e32 v31, v35, v49
	v_add_f32_e32 v14, v14, v23
	v_fmac_f32_e32 v18, 0xbf5db3d7, v15
	v_fmac_f32_e32 v16, 0x3f5db3d7, v15
	v_add_f32_e32 v15, v37, v22
	v_sub_f32_e32 v21, v26, v28
	v_mov_b32_e32 v22, v38
	v_add_f32_e32 v23, v26, v28
	v_fmac_f32_e32 v31, v34, v48
	v_fmac_f32_e32 v22, 0xbf5db3d7, v21
	;; [unrolled: 1-line block ×3, first 2 shown]
	v_add_f32_e32 v21, v39, v26
	v_fmac_f32_e32 v39, -0.5, v23
	v_add_f32_e32 v15, v15, v24
	v_sub_f32_e32 v24, v25, v27
	v_mov_b32_e32 v23, v39
	v_add_f32_e32 v25, v29, v31
	v_fmac_f32_e32 v23, 0x3f5db3d7, v24
	v_fmac_f32_e32 v39, 0xbf5db3d7, v24
	v_add_f32_e32 v24, v4, v29
	v_fma_f32 v4, -0.5, v25, v4
	v_add_f32_e32 v20, v20, v27
	v_sub_f32_e32 v25, v30, v32
	v_mov_b32_e32 v26, v4
	v_add_f32_e32 v27, v30, v32
	v_fmac_f32_e32 v26, 0xbf5db3d7, v25
	v_fmac_f32_e32 v4, 0x3f5db3d7, v25
	v_add_f32_e32 v25, v5, v30
	v_fmac_f32_e32 v5, -0.5, v27
	v_add_f32_e32 v21, v21, v28
	v_sub_f32_e32 v28, v29, v31
	v_mov_b32_e32 v27, v5
	v_add_f32_e32 v24, v24, v31
	v_add_f32_e32 v25, v25, v32
	v_fmac_f32_e32 v27, 0x3f5db3d7, v28
	v_fmac_f32_e32 v5, 0xbf5db3d7, v28
	ds_write2_b64 v89, v[6:7], v[10:11] offset1:17
	ds_write2_b64 v89, v[8:9], v[12:13] offset0:85 offset1:102
	ds_write2_b64 v89, v[0:1], v[2:3] offset0:170 offset1:187
	ds_write_b64 v89, v[14:15] offset:272
	ds_write2_b64 v92, v[18:19], v[16:17] offset0:85 offset1:170
	ds_write_b64 v89, v[20:21] offset:408
	;; [unrolled: 2-line block ×3, first 2 shown]
	ds_write2_b64 v90, v[26:27], v[4:5] offset0:85 offset1:170
	s_waitcnt lgkmcnt(0)
	; wave barrier
	s_waitcnt lgkmcnt(0)
	s_and_b64 exec, exec, vcc
	s_cbranch_execz .LBB0_15
; %bb.14:
	global_load_dwordx2 v[0:1], v84, s[12:13]
	ds_read_b64 v[4:5], v89
	v_mad_u64_u32 v[2:3], s[0:1], s6, v68, 0
	v_mad_u64_u32 v[6:7], s[0:1], s4, v83, 0
	s_waitcnt lgkmcnt(0)
	v_mad_u64_u32 v[8:9], s[2:3], s7, v68, v[3:4]
	s_mov_b32 s0, 0x10101010
	s_mov_b32 s1, 0x3f701010
	v_mad_u64_u32 v[9:10], s[2:3], s5, v83, v[7:8]
	v_mov_b32_e32 v11, s15
	v_lshl_add_u32 v10, v85, 3, v84
	v_mov_b32_e32 v7, v9
	v_lshlrev_b64 v[6:7], 3, v[6:7]
	s_mul_i32 s3, s5, 0x78
	s_mul_hi_u32 s6, s4, 0x78
	s_mul_i32 s2, s4, 0x78
	s_add_i32 s3, s6, s3
	s_waitcnt vmcnt(0)
	v_mul_f32_e32 v3, v5, v1
	v_mul_f32_e32 v1, v4, v1
	v_fmac_f32_e32 v3, v4, v0
	v_fma_f32 v4, v0, v5, -v1
	v_cvt_f64_f32_e32 v[0:1], v3
	v_cvt_f64_f32_e32 v[4:5], v4
	v_mov_b32_e32 v3, v8
	v_lshlrev_b64 v[2:3], 3, v[2:3]
	v_mul_f64 v[0:1], v[0:1], s[0:1]
	v_mul_f64 v[4:5], v[4:5], s[0:1]
	v_add_co_u32_e32 v8, vcc, s14, v2
	v_addc_co_u32_e32 v9, vcc, v11, v3, vcc
	v_cvt_f32_f64_e32 v0, v[0:1]
	v_cvt_f32_f64_e32 v1, v[4:5]
	v_add_co_u32_e32 v4, vcc, v8, v6
	v_addc_co_u32_e32 v5, vcc, v9, v7, vcc
	global_store_dwordx2 v[4:5], v[0:1], off
	global_load_dwordx2 v[6:7], v84, s[12:13] offset:120
	ds_read2_b64 v[0:3], v10 offset0:15 offset1:30
	v_add_co_u32_e32 v4, vcc, s2, v4
	s_waitcnt vmcnt(0) lgkmcnt(0)
	v_mul_f32_e32 v11, v1, v7
	v_mul_f32_e32 v7, v0, v7
	v_fmac_f32_e32 v11, v0, v6
	v_fma_f32 v6, v6, v1, -v7
	v_cvt_f64_f32_e32 v[0:1], v11
	v_cvt_f64_f32_e32 v[6:7], v6
	v_mov_b32_e32 v11, s3
	v_addc_co_u32_e32 v5, vcc, v5, v11, vcc
	v_mul_f64 v[0:1], v[0:1], s[0:1]
	v_mul_f64 v[6:7], v[6:7], s[0:1]
	v_cvt_f32_f64_e32 v0, v[0:1]
	v_cvt_f32_f64_e32 v1, v[6:7]
	global_store_dwordx2 v[4:5], v[0:1], off
	global_load_dwordx2 v[0:1], v84, s[12:13] offset:240
	v_add_co_u32_e32 v4, vcc, s2, v4
	s_waitcnt vmcnt(0)
	v_mul_f32_e32 v6, v3, v1
	v_mul_f32_e32 v1, v2, v1
	v_fmac_f32_e32 v6, v2, v0
	v_fma_f32 v2, v0, v3, -v1
	v_cvt_f64_f32_e32 v[0:1], v6
	v_cvt_f64_f32_e32 v[2:3], v2
	v_mov_b32_e32 v6, s3
	v_addc_co_u32_e32 v5, vcc, v5, v6, vcc
	v_mul_f64 v[0:1], v[0:1], s[0:1]
	v_mul_f64 v[2:3], v[2:3], s[0:1]
	v_cvt_f32_f64_e32 v0, v[0:1]
	v_cvt_f32_f64_e32 v1, v[2:3]
	global_store_dwordx2 v[4:5], v[0:1], off
	global_load_dwordx2 v[6:7], v84, s[12:13] offset:360
	ds_read2_b64 v[0:3], v10 offset0:45 offset1:60
	v_add_co_u32_e32 v4, vcc, s2, v4
	s_waitcnt vmcnt(0) lgkmcnt(0)
	v_mul_f32_e32 v11, v1, v7
	v_mul_f32_e32 v7, v0, v7
	v_fmac_f32_e32 v11, v0, v6
	v_fma_f32 v6, v6, v1, -v7
	v_cvt_f64_f32_e32 v[0:1], v11
	v_cvt_f64_f32_e32 v[6:7], v6
	v_mov_b32_e32 v11, s3
	v_addc_co_u32_e32 v5, vcc, v5, v11, vcc
	v_mul_f64 v[0:1], v[0:1], s[0:1]
	v_mul_f64 v[6:7], v[6:7], s[0:1]
	v_cvt_f32_f64_e32 v0, v[0:1]
	v_cvt_f32_f64_e32 v1, v[6:7]
	global_store_dwordx2 v[4:5], v[0:1], off
	global_load_dwordx2 v[0:1], v84, s[12:13] offset:480
	v_add_co_u32_e32 v4, vcc, s2, v4
	s_waitcnt vmcnt(0)
	v_mul_f32_e32 v6, v3, v1
	v_mul_f32_e32 v1, v2, v1
	v_fmac_f32_e32 v6, v2, v0
	v_fma_f32 v2, v0, v3, -v1
	v_cvt_f64_f32_e32 v[0:1], v6
	v_cvt_f64_f32_e32 v[2:3], v2
	v_mov_b32_e32 v6, s3
	v_addc_co_u32_e32 v5, vcc, v5, v6, vcc
	v_mul_f64 v[0:1], v[0:1], s[0:1]
	v_mul_f64 v[2:3], v[2:3], s[0:1]
	v_cvt_f32_f64_e32 v0, v[0:1]
	v_cvt_f32_f64_e32 v1, v[2:3]
	;; [unrolled: 33-line block ×7, first 2 shown]
	global_store_dwordx2 v[4:5], v[0:1], off
	global_load_dwordx2 v[6:7], v84, s[12:13] offset:1800
	ds_read2_b64 v[0:3], v10 offset0:225 offset1:240
	v_add_co_u32_e32 v4, vcc, s2, v4
	s_waitcnt vmcnt(0) lgkmcnt(0)
	v_mul_f32_e32 v10, v1, v7
	v_mul_f32_e32 v7, v0, v7
	v_fmac_f32_e32 v10, v0, v6
	v_fma_f32 v6, v6, v1, -v7
	v_cvt_f64_f32_e32 v[0:1], v10
	v_cvt_f64_f32_e32 v[6:7], v6
	v_mov_b32_e32 v10, s3
	v_addc_co_u32_e32 v5, vcc, v5, v10, vcc
	v_mul_f64 v[0:1], v[0:1], s[0:1]
	v_mul_f64 v[6:7], v[6:7], s[0:1]
	v_cvt_f32_f64_e32 v0, v[0:1]
	v_cvt_f32_f64_e32 v1, v[6:7]
	v_or_b32_e32 v6, 0xf0, v83
	global_store_dwordx2 v[4:5], v[0:1], off
	global_load_dwordx2 v[0:1], v84, s[12:13] offset:1920
	v_mad_u64_u32 v[4:5], s[2:3], s4, v6, 0
	s_waitcnt vmcnt(0)
	v_mul_f32_e32 v7, v3, v1
	v_mul_f32_e32 v1, v2, v1
	v_fmac_f32_e32 v7, v2, v0
	v_fma_f32 v2, v0, v3, -v1
	v_cvt_f64_f32_e32 v[0:1], v7
	v_cvt_f64_f32_e32 v[2:3], v2
	v_mul_f64 v[0:1], v[0:1], s[0:1]
	v_mul_f64 v[2:3], v[2:3], s[0:1]
	v_mad_u64_u32 v[5:6], s[0:1], s5, v6, v[5:6]
	v_lshlrev_b64 v[4:5], 3, v[4:5]
	v_cvt_f32_f64_e32 v0, v[0:1]
	v_cvt_f32_f64_e32 v1, v[2:3]
	v_add_co_u32_e32 v2, vcc, v8, v4
	v_addc_co_u32_e32 v3, vcc, v9, v5, vcc
	global_store_dwordx2 v[2:3], v[0:1], off
.LBB0_15:
	s_endpgm
	.section	.rodata,"a",@progbits
	.p2align	6, 0x0
	.amdhsa_kernel bluestein_single_back_len255_dim1_sp_op_CI_CI
		.amdhsa_group_segment_fixed_size 6120
		.amdhsa_private_segment_fixed_size 0
		.amdhsa_kernarg_size 104
		.amdhsa_user_sgpr_count 6
		.amdhsa_user_sgpr_private_segment_buffer 1
		.amdhsa_user_sgpr_dispatch_ptr 0
		.amdhsa_user_sgpr_queue_ptr 0
		.amdhsa_user_sgpr_kernarg_segment_ptr 1
		.amdhsa_user_sgpr_dispatch_id 0
		.amdhsa_user_sgpr_flat_scratch_init 0
		.amdhsa_user_sgpr_private_segment_size 0
		.amdhsa_uses_dynamic_stack 0
		.amdhsa_system_sgpr_private_segment_wavefront_offset 0
		.amdhsa_system_sgpr_workgroup_id_x 1
		.amdhsa_system_sgpr_workgroup_id_y 0
		.amdhsa_system_sgpr_workgroup_id_z 0
		.amdhsa_system_sgpr_workgroup_info 0
		.amdhsa_system_vgpr_workitem_id 0
		.amdhsa_next_free_vgpr 242
		.amdhsa_next_free_sgpr 18
		.amdhsa_reserve_vcc 1
		.amdhsa_reserve_flat_scratch 0
		.amdhsa_float_round_mode_32 0
		.amdhsa_float_round_mode_16_64 0
		.amdhsa_float_denorm_mode_32 3
		.amdhsa_float_denorm_mode_16_64 3
		.amdhsa_dx10_clamp 1
		.amdhsa_ieee_mode 1
		.amdhsa_fp16_overflow 0
		.amdhsa_exception_fp_ieee_invalid_op 0
		.amdhsa_exception_fp_denorm_src 0
		.amdhsa_exception_fp_ieee_div_zero 0
		.amdhsa_exception_fp_ieee_overflow 0
		.amdhsa_exception_fp_ieee_underflow 0
		.amdhsa_exception_fp_ieee_inexact 0
		.amdhsa_exception_int_div_zero 0
	.end_amdhsa_kernel
	.text
.Lfunc_end0:
	.size	bluestein_single_back_len255_dim1_sp_op_CI_CI, .Lfunc_end0-bluestein_single_back_len255_dim1_sp_op_CI_CI
                                        ; -- End function
	.section	.AMDGPU.csdata,"",@progbits
; Kernel info:
; codeLenInByte = 18660
; NumSgprs: 22
; NumVgprs: 242
; ScratchSize: 0
; MemoryBound: 0
; FloatMode: 240
; IeeeMode: 1
; LDSByteSize: 6120 bytes/workgroup (compile time only)
; SGPRBlocks: 2
; VGPRBlocks: 60
; NumSGPRsForWavesPerEU: 22
; NumVGPRsForWavesPerEU: 242
; Occupancy: 1
; WaveLimiterHint : 1
; COMPUTE_PGM_RSRC2:SCRATCH_EN: 0
; COMPUTE_PGM_RSRC2:USER_SGPR: 6
; COMPUTE_PGM_RSRC2:TRAP_HANDLER: 0
; COMPUTE_PGM_RSRC2:TGID_X_EN: 1
; COMPUTE_PGM_RSRC2:TGID_Y_EN: 0
; COMPUTE_PGM_RSRC2:TGID_Z_EN: 0
; COMPUTE_PGM_RSRC2:TIDIG_COMP_CNT: 0
	.type	__hip_cuid_e3a20d94b547d30f,@object ; @__hip_cuid_e3a20d94b547d30f
	.section	.bss,"aw",@nobits
	.globl	__hip_cuid_e3a20d94b547d30f
__hip_cuid_e3a20d94b547d30f:
	.byte	0                               ; 0x0
	.size	__hip_cuid_e3a20d94b547d30f, 1

	.ident	"AMD clang version 19.0.0git (https://github.com/RadeonOpenCompute/llvm-project roc-6.4.0 25133 c7fe45cf4b819c5991fe208aaa96edf142730f1d)"
	.section	".note.GNU-stack","",@progbits
	.addrsig
	.addrsig_sym __hip_cuid_e3a20d94b547d30f
	.amdgpu_metadata
---
amdhsa.kernels:
  - .args:
      - .actual_access:  read_only
        .address_space:  global
        .offset:         0
        .size:           8
        .value_kind:     global_buffer
      - .actual_access:  read_only
        .address_space:  global
        .offset:         8
        .size:           8
        .value_kind:     global_buffer
      - .actual_access:  read_only
        .address_space:  global
        .offset:         16
        .size:           8
        .value_kind:     global_buffer
      - .actual_access:  read_only
        .address_space:  global
        .offset:         24
        .size:           8
        .value_kind:     global_buffer
      - .actual_access:  read_only
        .address_space:  global
        .offset:         32
        .size:           8
        .value_kind:     global_buffer
      - .offset:         40
        .size:           8
        .value_kind:     by_value
      - .address_space:  global
        .offset:         48
        .size:           8
        .value_kind:     global_buffer
      - .address_space:  global
        .offset:         56
        .size:           8
        .value_kind:     global_buffer
      - .address_space:  global
        .offset:         64
        .size:           8
        .value_kind:     global_buffer
      - .address_space:  global
        .offset:         72
        .size:           8
        .value_kind:     global_buffer
      - .offset:         80
        .size:           4
        .value_kind:     by_value
      - .address_space:  global
        .offset:         88
        .size:           8
        .value_kind:     global_buffer
      - .address_space:  global
        .offset:         96
        .size:           8
        .value_kind:     global_buffer
    .group_segment_fixed_size: 6120
    .kernarg_segment_align: 8
    .kernarg_segment_size: 104
    .language:       OpenCL C
    .language_version:
      - 2
      - 0
    .max_flat_workgroup_size: 51
    .name:           bluestein_single_back_len255_dim1_sp_op_CI_CI
    .private_segment_fixed_size: 0
    .sgpr_count:     22
    .sgpr_spill_count: 0
    .symbol:         bluestein_single_back_len255_dim1_sp_op_CI_CI.kd
    .uniform_work_group_size: 1
    .uses_dynamic_stack: false
    .vgpr_count:     242
    .vgpr_spill_count: 0
    .wavefront_size: 64
amdhsa.target:   amdgcn-amd-amdhsa--gfx906
amdhsa.version:
  - 1
  - 2
...

	.end_amdgpu_metadata
